;; amdgpu-corpus repo=ROCm/aiter kind=harvested arch=n/a opt=n/a

/root/src/amdgpu-assembly/repos/ROCm__aiter/hsa/gfx942/pa/pa_bf16_noquant_gqa16_1tg_4w.co:	file format elf64-amdgpu

Disassembly of section .text:

0000000000002200 <_ZN5aiter28pa_bf16_noquant_gqa16_1tg_4wE>:
	s_and_b32 s1, s1, 0xffff                                   // 000000002200: 8601FF01 0000FFFF
	s_load_dwordx2 s[8:9], s[0:1], 0x0                         // 000000002208: C0060200 00000000
	s_load_dwordx2 s[12:13], s[0:1], 0x10                      // 000000002210: C0060300 00000010
	s_load_dwordx2 s[16:17], s[0:1], 0x20                      // 000000002218: C0060400 00000020
	s_load_dwordx2 s[20:21], s[0:1], 0x30                      // 000000002220: C0060500 00000030
	s_load_dwordx2 s[24:25], s[0:1], 0x40                      // 000000002228: C0060600 00000040
	s_load_dwordx2 s[28:29], s[0:1], 0x50                      // 000000002230: C0060700 00000050
	s_load_dword s64, s[0:1], 0x80                             // 000000002238: C0021000 00000080
	s_load_dword s65, s[0:1], 0x90                             // 000000002240: C0021040 00000090
	s_load_dword s66, s[0:1], 0xa0                             // 000000002248: C0021080 000000A0
	s_load_dword s74, s[0:1], 0xb0                             // 000000002250: C0021280 000000B0
	s_load_dword s68, s[0:1], 0xc0                             // 000000002258: C0021100 000000C0
	s_load_dword s69, s[0:1], 0xd0                             // 000000002260: C0021140 000000D0
	s_load_dword s77, s[0:1], 0xe0                             // 000000002268: C0021340 000000E0
	v_lshrrev_b32_e32 v1, 10, v0                               // 000000002270: 2002008A
	v_lshrrev_b32_e32 v2, 10, v1                               // 000000002274: 2004028A
	v_and_b32_e32 v2, 0x3ff, v2                                // 000000002278: 260404FF 000003FF
	v_and_b32_e32 v1, 0x3ff, v1                                // 000000002280: 260202FF 000003FF
	v_and_b32_e32 v0, 0x3ff, v0                                // 000000002288: 260000FF 000003FF
	v_lshrrev_b32_e32 v3, 6, v0                                // 000000002290: 20060086
	v_and_b32_e32 v0, 63, v0                                   // 000000002294: 260000BF
	s_mov_b32 s2, s2                                           // 000000002298: BE820002
	s_mov_b32 s3, s3                                           // 00000000229C: BE830003
	s_mov_b32 s4, s4                                           // 0000000022A0: BE840004
	v_readfirstlane_b32 s7, v3                                 // 0000000022A4: 7E0E0503
	s_waitcnt lgkmcnt(0)                                       // 0000000022A8: BF8CC07F
	s_mul_i32 s67, 0x100, s77                                  // 0000000022AC: 92434DFF 00000100
	s_mul_i32 s76, 0x100, s77                                  // 0000000022B4: 924C4DFF 00000100
	s_mul_i32 s75, s66, s76                                    // 0000000022BC: 924B4C42
	s_mul_i32 s60, s3, 4                                       // 0000000022C0: 923C8403
	s_and_b32 s29, s29, 0xffff                                 // 0000000022C4: 861DFF1D 0000FFFF
	s_add_u32 s28, s60, s28                                    // 0000000022CC: 801C1C3C
	s_addc_u32 s29, 0, s29                                     // 0000000022D0: 821D1D80
	s_load_dword s72, s[28:29], 0x0                            // 0000000022D4: C002120E 00000000
	s_mov_b32 s10, s76                                         // 0000000022DC: BE8A004C
	s_mov_b32 s14, s67                                         // 0000000022E0: BE8E0043
	s_mul_i32 s60, 4, s65                                      // 0000000022E4: 923C4184
	s_mov_b32 s26, s60                                         // 0000000022E8: BE9A003C
	s_mov_b32 s18, 0x80000000                                  // 0000000022EC: BE9200FF 80000000
	s_mov_b32 s22, 0x80000000                                  // 0000000022F4: BE9600FF 80000000
	s_mov_b32 s11, 0x20000                                     // 0000000022FC: BE8B00FF 00020000
	s_mov_b32 s15, 0x20000                                     // 000000002304: BE8F00FF 00020000
	s_mov_b32 s19, 0x20000                                     // 00000000230C: BE9300FF 00020000
	s_mov_b32 s23, 0x20000                                     // 000000002314: BE9700FF 00020000
	s_mov_b32 s27, 0x20000                                     // 00000000231C: BE9B00FF 00020000
	s_and_b32 s9, s9, 0xffff                                   // 000000002324: 8609FF09 0000FFFF
	s_and_b32 s13, s13, 0xffff                                 // 00000000232C: 860DFF0D 0000FFFF
	s_and_b32 s17, s17, 0xffff                                 // 000000002334: 8611FF11 0000FFFF
	s_and_b32 s21, s21, 0xffff                                 // 00000000233C: 8615FF15 0000FFFF
	s_and_b32 s25, s25, 0xffff                                 // 000000002344: 8619FF19 0000FFFF
	s_or_b32 s9, s9, 0x40000                                   // 00000000234C: 8709FF09 00040000
	s_or_b32 s13, s13, 0x40000                                 // 000000002354: 870DFF0D 00040000
	s_or_b32 s17, s17, 0x40000                                 // 00000000235C: 8711FF11 00040000
	s_or_b32 s21, s21, 0x40000                                 // 000000002364: 8715FF15 00040000
	s_or_b32 s25, s25, 0x40000                                 // 00000000236C: 8719FF19 00040000
	v_accvgpr_write_b32 a255, 0                                // 000000002374: D3D940FF 18000080
	v_mov_b32_e32 v151, 0                                      // 00000000237C: 7F2E0280
	s_mul_i32 s60, s3, s65                                     // 000000002380: 923C4103
	s_mul_i32 s60, s60, 4                                      // 000000002384: 923C843C
	s_add_u32 s24, s60, s24                                    // 000000002388: 8018183C
	s_addc_u32 s25, 0, s25                                     // 00000000238C: 82191980
	s_mov_b32 s56, 64                                          // 000000002390: BEB800C0
	s_waitcnt lgkmcnt(0)                                       // 000000002394: BF8CC07F
	s_add_u32 s73, s72, 15                                     // 000000002398: 80498F48
	s_lshr_b32 s73, s73, 4                                     // 00000000239C: 8F498449
	s_mul_i32 s60, s73, 4                                      // 0000000023A0: 923C8449
	s_mov_b32 s26, s60                                         // 0000000023A4: BE9A003C
	v_and_b32_e32 v39, 3, v0                                   // 0000000023A8: 264E0083
	v_cmp_eq_u32_e64 s[60:61], 0, v39                          // 0000000023AC: D0CA003C 00024E80
	v_and_b32_e32 v38, 12, v0                                  // 0000000023B4: 264C008C
	v_add_u32_e32 v1, s7, v38                                  // 0000000023B8: 68024C07
	v_cndmask_b32_e64 v1, 0, v1, s[60:61]                      // 0000000023BC: D1000001 00F20280
	v_and_b32_e32 v39, 3, v0                                   // 0000000023C4: 264E0083
	v_cmp_eq_u32_e64 s[60:61], 0, v39                          // 0000000023C8: D0CA003C 00024E80
	v_lshrrev_b32_e32 v38, 5, v0                               // 0000000023D0: 204C0085
	v_and_b32_e32 v39, 14, v0                                  // 0000000023D4: 264E008E
	v_add_u32_e32 v38, v39, v38                                // 0000000023D8: 684C4D27
	v_cndmask_b32_e64 v38, v38, 0, s[60:61]                    // 0000000023DC: D1000026 00F10126
	v_add_u32_e32 v1, v1, v38                                  // 0000000023E4: 68024D01
	v_lshlrev_b32_e32 v1, 2, v1                                // 0000000023E8: 24020282
	v_writelane_b32 v1, 56, 7                                  // 0000000023EC: D28A0001 00010EB8
	v_writelane_b32 v1, 56, 23                                 // 0000000023F4: D28A0001 00012EB8
	v_writelane_b32 v1, 60, 39                                 // 0000000023FC: D28A0001 00014EBC
	v_writelane_b32 v1, 60, 55                                 // 000000002404: D28A0001 00016EBC
	buffer_load_dword v16, v1, s[24:27], 0 offen               // 00000000240C: E0501000 80061001
	v_add_u32_e32 v1, s56, v1                                  // 000000002414: 68020238
	buffer_load_dword v17, v1, s[24:27], 0 offen               // 000000002418: E0501000 80061101
	s_cmp_le_u32 s73, 32                                       // 000000002420: BF0BA049
	s_cselect_b32 s56, 0, s56                                  // 000000002424: 85383880
	s_mul_i32 s61, s2, s67                                     // 000000002428: 923D4302
	s_mul_i32 s60, s3, s74                                     // 00000000242C: 923C4A03
	s_add_u32 s60, s60, s61                                    // 000000002430: 803C3D3C
	s_add_u32 s12, s60, s12                                    // 000000002434: 800C0C3C
	s_addc_u32 s13, 0, s13                                     // 000000002438: 820D0D80
	s_mul_i32 s60, s7, 0x420                                   // 00000000243C: 923CFF07 00000420
	s_add_u32 m0, 0, s60                                       // 000000002444: 807C3C80
	s_mul_i32 s60, s7, 0x100                                   // 000000002448: 923CFF07 00000100
	v_lshlrev_b32_e32 v38, 2, v0                               // 000000002450: 244C0082
	v_add_u32_e64 v38, v38, s60                                // 000000002454: D1340026 00007926
	buffer_load_dword v38, s[12:15], 0 offen lds               // 00000000245C: E0511000 80030026
	s_add_u32 m0, m0, 0x100                                    // 000000002464: 807CFF7C 00000100
	v_add_u32_e32 v38, 0x400, v38                              // 00000000246C: 684C4CFF 00000400
	buffer_load_dword v38, s[12:15], 0 offen lds               // 000000002474: E0511000 80030026
	s_add_u32 m0, m0, 0x100                                    // 00000000247C: 807CFF7C 00000100
	v_add_u32_e32 v38, 0x400, v38                              // 000000002484: 684C4CFF 00000400
	buffer_load_dword v38, s[12:15], 0 offen lds               // 00000000248C: E0511000 80030026
	s_add_u32 m0, m0, 0x100                                    // 000000002494: 807CFF7C 00000100
	v_add_u32_e32 v38, 0x400, v38                              // 00000000249C: 684C4CFF 00000400
	buffer_load_dword v38, s[12:15], 0 offen lds               // 0000000024A4: E0511000 80030026
	s_add_u32 m0, m0, 0x100                                    // 0000000024AC: 807CFF7C 00000100
	v_add_u32_e32 v38, 0x400, v38                              // 0000000024B4: 684C4CFF 00000400
	s_mul_i32 s61, s2, s76                                     // 0000000024BC: 923D4C02
	s_mul_i32 s60, s3, s75                                     // 0000000024C0: 923C4B03
	s_add_u32 s60, s60, s61                                    // 0000000024C4: 803C3D3C
	s_add_u32 s8, s60, s8                                      // 0000000024C8: 8008083C
	s_addc_u32 s9, 0, s9                                       // 0000000024CC: 82090980
	s_mul_i32 s60, s7, 0x100                                   // 0000000024D0: 923CFF07 00000100
	v_lshlrev_b32_e32 v8, 2, v0                                // 0000000024D8: 24100082
	v_add_u32_e64 v8, v8, s60                                  // 0000000024DC: D1340008 00007908
	s_mov_b32 s70, 0                                           // 0000000024E4: BEC60080
	s_and_b32 s71, s72, 0xffffff00                             // 0000000024E8: 8647FF48 FFFFFF00
	v_mov_b32_e32 v51, s68                                     // 0000000024F0: 7E660244
	v_mov_b32_e32 v9, -1                                       // 0000000024F4: 7E1202C1
	s_mov_b32 s52, 0x7060302                                   // 0000000024F8: BEB400FF 07060302
	s_mov_b32 s53, 0x400                                       // 000000002500: BEB500FF 00000400
	s_mov_b32 s54, 0x40100                                     // 000000002508: BEB600FF 00040100
	s_mov_b32 s55, 0x4020100                                   // 000000002510: BEB700FF 04020100
	v_mov_b32_dpp v9, v9 row_shl:8 row_mask:0xf bank_mask:0xf bound_ctrl:1// 000000002518: 7E1202FA FF090809
	s_mov_b32 s6, 0x3fb8aa3b                                   // 000000002520: BE8600FF 3FB8AA3B
	v_mov_b32_e32 v14, 0xff800000                              // 000000002528: 7E1C02FF FF800000
	v_mov_b32_e32 v52, 0xff800000                              // 000000002530: 7E6802FF FF800000
	v_mov_b32_e32 v49, 0                                       // 000000002538: 7E620280
	v_mov_b32_e32 v42, 0                                       // 00000000253C: 7E540280
	v_mov_b32_e32 v19, 0xffff0000                              // 000000002540: 7E2602FF FFFF0000
	v_mov_b32_e32 v20, 0x7fff0000                              // 000000002548: 7E2802FF 7FFF0000
	v_mov_b32_e32 v21, 0x7fff                                  // 000000002550: 7E2A02FF 00007FFF
	v_add_u32_e32 v1, s56, v1                                  // 000000002558: 68020238
	v_and_b32_e32 v10, 15, v0                                  // 00000000255C: 2614008F
	v_lshlrev_b32_e32 v10, 2, v10                              // 000000002560: 24141482
	v_lshlrev_b32_e32 v11, 2, v0                               // 000000002564: 24160082
	s_mul_i32 s60, 0x100, s7                                   // 000000002568: 923C07FF 00000100
	v_add_u32_e32 v11, s60, v11                                // 000000002570: 6816163C
	v_lshrrev_b32_e32 v38, 4, v0                               // 000000002574: 204C0084
	v_lshlrev_b32_e32 v39, 6, v38                              // 000000002578: 244E4C86
	v_and_b32_e32 v38, 15, v0                                  // 00000000257C: 264C008F
	v_lshlrev_b32_e32 v38, 1, v38                              // 000000002580: 244C4C81
	v_add_u32_e32 v39, v38, v39                                // 000000002584: 684E4F26
	v_lshlrev_b32_e32 v12, 2, v39                              // 000000002588: 24184E82
	v_lshlrev_b32_e32 v38, 3, v0                               // 00000000258C: 244C0083
	s_mul_i32 s60, 0x200, s7                                   // 000000002590: 923C07FF 00000200
	v_add_u32_e64 v13, v38, s60                                // 000000002598: D134000D 00007926
	v_lshlrev_b32_e32 v6, 4, v0                                // 0000000025A0: 240C0084
	s_mul_i32 s60, s2, s69                                     // 0000000025A4: 923C4502
	s_add_u32 s16, s60, s16                                    // 0000000025A8: 8010103C
	s_addc_u32 s17, 0, s17                                     // 0000000025AC: 82111180
	v_and_b32_e32 v38, 15, v0                                  // 0000000025B0: 264C008F
	v_lshlrev_b32_e32 v7, 4, v38                               // 0000000025B4: 240E4C84
	v_and_b32_e32 v38, 31, v0                                  // 0000000025B8: 264C009F
	v_lshrrev_b32_e32 v38, 4, v38                              // 0000000025BC: 204C4C84
	v_mul_i32_i24_e32 v38, 0x800, v38                          // 0000000025C0: 0C4C4CFF 00000800
	v_add_u32_e32 v7, v38, v7                                  // 0000000025C8: 680E0F26
	s_mul_i32 s61, s2, s69                                     // 0000000025CC: 923D4502
	s_mul_i32 s60, s7, 0x100                                   // 0000000025D0: 923CFF07 00000100
	s_add_u32 s60, s60, s61                                    // 0000000025D8: 803C3D3C
	s_add_u32 s20, s60, s20                                    // 0000000025DC: 8014143C
	s_addc_u32 s21, 0, s21                                     // 0000000025E0: 82151580
	s_waitcnt vmcnt(4)                                         // 0000000025E4: BF8C0F74
	v_mul_u32_u24_dpp v38, v16, v51 row_newbcast:0 row_mask:0xf bank_mask:0xf// 0000000025E8: 104C66FA FF015010
	v_mul_u32_u24_dpp v39, v16, v51 row_newbcast:4 row_mask:0xf bank_mask:0xf// 0000000025F0: 104E66FA FF015410
	v_mul_u32_u24_dpp v40, v16, v51 row_newbcast:8 row_mask:0xf bank_mask:0xf// 0000000025F8: 105066FA FF015810
	v_mul_u32_u24_dpp v41, v16, v51 row_newbcast:12 row_mask:0xf bank_mask:0xf// 000000002600: 105266FA FF015C10
	v_add_u32_e32 v22, v38, v6                                 // 000000002608: 682C0D26
	v_add_u32_e32 v23, v39, v6                                 // 00000000260C: 682E0D27
	v_add_u32_e32 v24, v40, v6                                 // 000000002610: 68300D28
	v_add_u32_e32 v25, v41, v6                                 // 000000002614: 68320D29
	v_mul_u32_u24_dpp v38, v16, v51 row_newbcast:1 row_mask:0xf bank_mask:0xf// 000000002618: 104C66FA FF015110
	v_mul_u32_u24_dpp v39, v16, v51 row_newbcast:2 row_mask:0xf bank_mask:0xf// 000000002620: 104E66FA FF015210
	v_mul_u32_u24_dpp v40, v16, v51 row_newbcast:5 row_mask:0xf bank_mask:0xf// 000000002628: 105066FA FF015510
	v_mul_u32_u24_dpp v41, v16, v51 row_newbcast:6 row_mask:0xf bank_mask:0xf// 000000002630: 105266FA FF015610
	v_add_u32_e32 v136, v38, v7                                // 000000002638: 69100F26
	v_add_u32_e32 v137, v39, v7                                // 00000000263C: 69120F27
	v_add_u32_e32 v138, v40, v7                                // 000000002640: 69140F28
	v_add_u32_e32 v139, v41, v7                                // 000000002644: 69160F29
	v_mul_u32_u24_dpp v38, v16, v51 row_newbcast:9 row_mask:0xf bank_mask:0xf// 000000002648: 104C66FA FF015910
	v_mul_u32_u24_dpp v39, v16, v51 row_newbcast:10 row_mask:0xf bank_mask:0xf// 000000002650: 104E66FA FF015A10
	v_mul_u32_u24_dpp v40, v16, v51 row_newbcast:13 row_mask:0xf bank_mask:0xf// 000000002658: 105066FA FF015D10
	v_mul_u32_u24_dpp v41, v16, v51 row_newbcast:7 row_mask:0xf bank_mask:0xf// 000000002660: 105266FA FF015710
	v_add_u32_e32 v140, v38, v7                                // 000000002668: 69180F26
	v_add_u32_e32 v141, v39, v7                                // 00000000266C: 691A0F27
	v_add_u32_e32 v142, v40, v7                                // 000000002670: 691C0F28
	v_add_u32_e32 v143, v41, v7                                // 000000002674: 691E0F29
	buffer_load_dwordx4 a[0:3], v22, s[16:19], 0 offen         // 000000002678: E05C1000 80840016
	buffer_load_dwordx4 a[4:7], v22, s[16:19], 0 offen offset:1024// 000000002680: E05C1400 80840416
	buffer_load_dwordx4 a[8:11], v22, s[16:19], 0 offen offset:2048// 000000002688: E05C1800 80840816
	buffer_load_dwordx4 a[12:15], v22, s[16:19], 0 offen offset:3072// 000000002690: E05C1C00 80840C16
	buffer_load_dwordx4 a[16:19], v23, s[16:19], 0 offen       // 000000002698: E05C1000 80841017
	buffer_load_dwordx4 a[20:23], v23, s[16:19], 0 offen offset:1024// 0000000026A0: E05C1400 80841417
	buffer_load_dwordx4 a[24:27], v23, s[16:19], 0 offen offset:2048// 0000000026A8: E05C1800 80841817
	buffer_load_dwordx4 a[28:31], v23, s[16:19], 0 offen offset:3072// 0000000026B0: E05C1C00 80841C17
	buffer_load_dwordx4 a[32:35], v24, s[16:19], 0 offen       // 0000000026B8: E05C1000 80842018
	buffer_load_dwordx4 a[36:39], v24, s[16:19], 0 offen offset:1024// 0000000026C0: E05C1400 80842418
	buffer_load_dwordx4 a[40:43], v24, s[16:19], 0 offen offset:2048// 0000000026C8: E05C1800 80842818
	buffer_load_dwordx4 a[44:47], v24, s[16:19], 0 offen offset:3072// 0000000026D0: E05C1C00 80842C18
	buffer_load_dwordx4 a[48:51], v25, s[16:19], 0 offen       // 0000000026D8: E05C1000 80843019
	buffer_load_dwordx4 a[52:55], v25, s[16:19], 0 offen offset:1024// 0000000026E0: E05C1400 80843419
	buffer_load_dwordx4 a[56:59], v25, s[16:19], 0 offen offset:2048// 0000000026E8: E05C1800 80843819
	buffer_load_dwordx4 a[60:63], v25, s[16:19], 0 offen offset:3072// 0000000026F0: E05C1C00 80843C19
	buffer_load_dwordx4 a[128:131], v136, s[20:23], 0 offen    // 0000000026F8: E05C1000 80858088
	buffer_load_dwordx4 a[132:135], v137, s[20:23], 0 offen    // 000000002700: E05C1000 80858489
	buffer_load_dwordx4 a[136:139], v138, s[20:23], 0 offen    // 000000002708: E05C1000 8085888A
	buffer_load_dwordx4 a[140:143], v139, s[20:23], 0 offen    // 000000002710: E05C1000 80858C8B
	buffer_load_dwordx4 a[144:147], v140, s[20:23], 0 offen    // 000000002718: E05C1000 8085908C
	buffer_load_dwordx4 a[148:151], v141, s[20:23], 0 offen    // 000000002720: E05C1000 8085948D
	buffer_load_dwordx4 a[152:155], v142, s[20:23], 0 offen    // 000000002728: E05C1000 8085988E
	buffer_load_dwordx4 a[156:159], v143, s[20:23], 0 offen    // 000000002730: E05C1000 80859C8F
	buffer_load_dwordx4 a[160:163], v136, s[20:23], 0 offen offset:1024// 000000002738: E05C1400 8085A088
	buffer_load_dwordx4 a[164:167], v137, s[20:23], 0 offen offset:1024// 000000002740: E05C1400 8085A489
	buffer_load_dwordx4 a[168:171], v138, s[20:23], 0 offen offset:1024// 000000002748: E05C1400 8085A88A
	buffer_load_dwordx4 a[172:175], v139, s[20:23], 0 offen offset:1024// 000000002750: E05C1400 8085AC8B
	buffer_load_dwordx4 a[176:179], v140, s[20:23], 0 offen offset:1024// 000000002758: E05C1400 8085B08C
	buffer_load_dwordx4 a[180:183], v141, s[20:23], 0 offen offset:1024// 000000002760: E05C1400 8085B48D
	buffer_load_dwordx4 a[184:187], v142, s[20:23], 0 offen offset:1024// 000000002768: E05C1400 8085B88E
	buffer_load_dwordx4 a[188:191], v143, s[20:23], 0 offen offset:1024// 000000002770: E05C1400 8085BC8F
	v_lshrrev_b32_e32 v38, 4, v0                               // 000000002778: 204C0084
	v_lshlrev_b32_e32 v39, 2, v38                              // 00000000277C: 244E4C82
	v_and_b32_e32 v38, 15, v0                                  // 000000002780: 264C008F
	v_lshrrev_b32_e32 v40, 2, v38                              // 000000002784: 20504C82
	v_lshlrev_b32_e32 v40, 6, v40                              // 000000002788: 24505086
	v_add_u32_e32 v39, v40, v39                                // 00000000278C: 684E4F28
	v_and_b32_e32 v38, 3, v0                                   // 000000002790: 264C0083
	v_mul_i32_i24_e32 v40, 0x108, v38                          // 000000002794: 0C504CFF 00000108
	v_add_u32_e32 v39, v40, v39                                // 00000000279C: 684E4F28
	v_lshlrev_b32_e32 v4, 2, v39                               // 0000000027A0: 24084E82
	s_waitcnt vmcnt(32) lgkmcnt(0)                             // 0000000027A4: BF8C8070
	s_barrier                                                  // 0000000027A8: BF8A0000
	ds_read_b128 v[80:83], v4                                  // 0000000027AC: D9FE0000 50000004
	ds_read_b128 v[84:87], v4 offset:64                        // 0000000027B4: D9FE0040 54000004
	ds_read_b128 v[88:91], v4 offset:128                       // 0000000027BC: D9FE0080 58000004
	ds_read_b128 v[92:95], v4 offset:192                       // 0000000027C4: D9FE00C0 5C000004
	v_mov_b32_e32 v128, 0                                      // 0000000027CC: 7F000280
	v_mov_b32_e32 v129, 0                                      // 0000000027D0: 7F020280
	v_mov_b32_e32 v130, 0                                      // 0000000027D4: 7F040280
	v_mov_b32_e32 v131, 0                                      // 0000000027D8: 7F060280
	v_mov_b32_e32 v132, 0                                      // 0000000027DC: 7F080280
	v_mov_b32_e32 v133, 0                                      // 0000000027E0: 7F0A0280
	v_mov_b32_e32 v134, 0                                      // 0000000027E4: 7F0C0280
	v_mov_b32_e32 v135, 0                                      // 0000000027E8: 7F0E0280
	s_waitcnt vmcnt(16) lgkmcnt(0)                             // 0000000027EC: BF8C4070
	s_barrier                                                  // 0000000027F0: BF8A0000
	v_mul_u32_u24_dpp v38, v17, v51 row_newbcast:0 row_mask:0xf bank_mask:0xf// 0000000027F4: 104C66FA FF015011
	v_mul_u32_u24_dpp v39, v17, v51 row_newbcast:4 row_mask:0xf bank_mask:0xf// 0000000027FC: 104E66FA FF015411
	v_mul_u32_u24_dpp v40, v17, v51 row_newbcast:8 row_mask:0xf bank_mask:0xf// 000000002804: 105066FA FF015811
	v_mul_u32_u24_dpp v41, v17, v51 row_newbcast:12 row_mask:0xf bank_mask:0xf// 00000000280C: 105266FA FF015C11
	v_add_u32_e32 v26, v38, v6                                 // 000000002814: 68340D26
	v_add_u32_e32 v27, v39, v6                                 // 000000002818: 68360D27
	v_add_u32_e32 v28, v40, v6                                 // 00000000281C: 68380D28
	v_add_u32_e32 v29, v41, v6                                 // 000000002820: 683A0D29
	v_mul_u32_u24_dpp v38, v17, v51 row_newbcast:1 row_mask:0xf bank_mask:0xf// 000000002824: 104C66FA FF015111
	v_mul_u32_u24_dpp v39, v17, v51 row_newbcast:2 row_mask:0xf bank_mask:0xf// 00000000282C: 104E66FA FF015211
	v_mul_u32_u24_dpp v40, v17, v51 row_newbcast:5 row_mask:0xf bank_mask:0xf// 000000002834: 105066FA FF015511
	v_mul_u32_u24_dpp v41, v17, v51 row_newbcast:6 row_mask:0xf bank_mask:0xf// 00000000283C: 105266FA FF015611
	v_add_u32_e32 v144, v38, v7                                // 000000002844: 69200F26
	v_add_u32_e32 v145, v39, v7                                // 000000002848: 69220F27
	v_add_u32_e32 v146, v40, v7                                // 00000000284C: 69240F28
	v_add_u32_e32 v147, v41, v7                                // 000000002850: 69260F29
	v_mul_u32_u24_dpp v38, v17, v51 row_newbcast:9 row_mask:0xf bank_mask:0xf// 000000002854: 104C66FA FF015911
	v_mul_u32_u24_dpp v39, v17, v51 row_newbcast:10 row_mask:0xf bank_mask:0xf// 00000000285C: 104E66FA FF015A11
	v_mul_u32_u24_dpp v40, v17, v51 row_newbcast:13 row_mask:0xf bank_mask:0xf// 000000002864: 105066FA FF015D11
	v_mul_u32_u24_dpp v41, v17, v51 row_newbcast:7 row_mask:0xf bank_mask:0xf// 00000000286C: 105266FA FF015711
	v_add_u32_e32 v148, v38, v7                                // 000000002874: 69280F26
	v_add_u32_e32 v149, v39, v7                                // 000000002878: 692A0F27
	v_add_u32_e32 v150, v40, v7                                // 00000000287C: 692C0F28
	v_add_u32_e32 v151, v41, v7                                // 000000002880: 692E0F29
	s_cmp_lt_u32 s73, 16                                       // 000000002884: BF0A9049
	s_cbranch_scc1 label_0A49                                  // 000000002888: BF8508A6
	s_cmp_lt_i32 s7, 2                                         // 00000000288C: BF048207
	s_cbranch_scc0 label_05F7                                  // 000000002890: BF840452

0000000000002894 <label_01A5>:
	s_waitcnt vmcnt(16) lgkmcnt(0)                             // 000000002894: BF8C4070
	v_mfma_f32_16x16x16_bf16 v[96:99], a[0:1], v[80:81], 0     // 000000002898: D3E10060 0A02A100
	v_mfma_f32_16x16x16_bf16 v[96:99], a[2:3], v[82:83], v[96:99]// 0000000028A0: D3E10060 0D82A502
	buffer_load_dwordx4 a[64:67], v26, s[16:19], 0 offen       // 0000000028A8: E05C1000 8084401A
	v_mfma_f32_16x16x16_bf16 v[96:99], a[4:5], v[84:85], v[96:99]// 0000000028B0: D3E10060 0D82A904
	v_mfma_f32_16x16x16_bf16 v[96:99], a[6:7], v[86:87], v[96:99]// 0000000028B8: D3E10060 0D82AD06
	buffer_load_dword v16, v1, s[24:27], 0 offen               // 0000000028C0: E0501000 80061001
	v_mfma_f32_16x16x16_bf16 v[96:99], a[8:9], v[88:89], v[96:99]// 0000000028C8: D3E10060 0D82B108
	v_mfma_f32_16x16x16_bf16 v[96:99], a[10:11], v[90:91], v[96:99]// 0000000028D0: D3E10060 0D82B50A
	buffer_load_dwordx4 a[68:71], v26, s[16:19], 0 offen offset:1024// 0000000028D8: E05C1400 8084441A
	v_mfma_f32_16x16x16_bf16 v[96:99], a[12:13], v[92:93], v[96:99]// 0000000028E0: D3E10060 0D82B90C
	v_mfma_f32_16x16x16_bf16 v[96:99], a[14:15], v[94:95], v[96:99]// 0000000028E8: D3E10060 0D82BD0E
	v_mfma_f32_16x16x16_bf16 v[100:103], a[16:17], v[80:81], 0 // 0000000028F0: D3E10064 0A02A110
	v_mfma_f32_16x16x16_bf16 v[100:103], a[18:19], v[82:83], v[100:103]// 0000000028F8: D3E10064 0D92A512
	buffer_load_dwordx4 a[72:75], v26, s[16:19], 0 offen offset:2048// 000000002900: E05C1800 8084481A
	v_mfma_f32_16x16x16_bf16 v[100:103], a[20:21], v[84:85], v[100:103]// 000000002908: D3E10064 0D92A914
	v_mfma_f32_16x16x16_bf16 v[100:103], a[22:23], v[86:87], v[100:103]// 000000002910: D3E10064 0D92AD16
	v_mfma_f32_16x16x16_bf16 v[100:103], a[24:25], v[88:89], v[100:103]// 000000002918: D3E10064 0D92B118
	v_mfma_f32_16x16x16_bf16 v[100:103], a[26:27], v[90:91], v[100:103]// 000000002920: D3E10064 0D92B51A
	buffer_load_dwordx4 a[76:79], v26, s[16:19], 0 offen offset:3072// 000000002928: E05C1C00 80844C1A
	v_mfma_f32_16x16x16_bf16 v[100:103], a[28:29], v[92:93], v[100:103]// 000000002930: D3E10064 0D92B91C
	v_mfma_f32_16x16x16_bf16 v[100:103], a[30:31], v[94:95], v[100:103]// 000000002938: D3E10064 0D92BD1E
	v_mfma_f32_16x16x16_bf16 v[104:107], a[32:33], v[80:81], 0 // 000000002940: D3E10068 0A02A120
	v_mfma_f32_16x16x16_bf16 v[104:107], a[34:35], v[82:83], v[104:107]// 000000002948: D3E10068 0DA2A522
	buffer_load_dwordx4 a[80:83], v27, s[16:19], 0 offen       // 000000002950: E05C1000 8084501B
	v_mfma_f32_16x16x16_bf16 v[104:107], a[36:37], v[84:85], v[104:107]// 000000002958: D3E10068 0DA2A924
	v_mfma_f32_16x16x16_bf16 v[104:107], a[38:39], v[86:87], v[104:107]// 000000002960: D3E10068 0DA2AD26
	v_mfma_f32_16x16x16_bf16 v[104:107], a[40:41], v[88:89], v[104:107]// 000000002968: D3E10068 0DA2B128
	v_mfma_f32_16x16x16_bf16 v[104:107], a[42:43], v[90:91], v[104:107]// 000000002970: D3E10068 0DA2B52A
	buffer_load_dwordx4 a[84:87], v27, s[16:19], 0 offen offset:1024// 000000002978: E05C1400 8084541B
	v_mfma_f32_16x16x16_bf16 v[104:107], a[44:45], v[92:93], v[104:107]// 000000002980: D3E10068 0DA2B92C
	v_mfma_f32_16x16x16_bf16 v[104:107], a[46:47], v[94:95], v[104:107]// 000000002988: D3E10068 0DA2BD2E
	v_mfma_f32_16x16x16_bf16 v[108:111], a[48:49], v[80:81], 0 // 000000002990: D3E1006C 0A02A130
	v_mfma_f32_16x16x16_bf16 v[108:111], a[50:51], v[82:83], v[108:111]// 000000002998: D3E1006C 0DB2A532
	buffer_load_dwordx4 a[88:91], v27, s[16:19], 0 offen offset:2048// 0000000029A0: E05C1800 8084581B
	v_mfma_f32_16x16x16_bf16 v[108:111], a[52:53], v[84:85], v[108:111]// 0000000029A8: D3E1006C 0DB2A934
	v_mfma_f32_16x16x16_bf16 v[108:111], a[54:55], v[86:87], v[108:111]// 0000000029B0: D3E1006C 0DB2AD36
	v_mfma_f32_16x16x16_bf16 v[108:111], a[56:57], v[88:89], v[108:111]// 0000000029B8: D3E1006C 0DB2B138
	v_mfma_f32_16x16x16_bf16 v[108:111], a[58:59], v[90:91], v[108:111]// 0000000029C0: D3E1006C 0DB2B53A
	buffer_load_dwordx4 a[92:95], v27, s[16:19], 0 offen offset:3072// 0000000029C8: E05C1C00 80845C1B
	v_mfma_f32_16x16x16_bf16 v[108:111], a[60:61], v[92:93], v[108:111]// 0000000029D0: D3E1006C 0DB2B93C
	v_mfma_f32_16x16x16_bf16 v[108:111], a[62:63], v[94:95], v[108:111]// 0000000029D8: D3E1006C 0DB2BD3E
	buffer_load_dwordx4 a[96:99], v28, s[16:19], 0 offen       // 0000000029E0: E05C1000 8084601C
	s_nop 8                                                    // 0000000029E8: BF800008
	buffer_load_dwordx4 a[100:103], v28, s[16:19], 0 offen offset:1024// 0000000029EC: E05C1400 8084641C
	v_mov_b32_e32 v48, v96                                     // 0000000029F4: 7E600360
	v_max3_f32 v48, v96, v97, v48                              // 0000000029F8: D1D30030 04C2C360
	v_max3_f32 v48, v98, v99, v48                              // 000000002A00: D1D30030 04C2C762
	v_max3_f32 v48, v100, v101, v48                            // 000000002A08: D1D30030 04C2CB64
	v_max3_f32 v48, v102, v103, v48                            // 000000002A10: D1D30030 04C2CF66
	v_max3_f32 v48, v104, v105, v48                            // 000000002A18: D1D30030 04C2D368
	v_max3_f32 v48, v106, v107, v48                            // 000000002A20: D1D30030 04C2D76A
	v_max3_f32 v48, v108, v109, v48                            // 000000002A28: D1D30030 04C2DB6C
	v_max3_f32 v48, v110, v111, v48                            // 000000002A30: D1D30030 04C2DF6E
	ds_write_b32 v11, v48 offset:4224                          // 000000002A38: D81A1080 0000300B
	buffer_load_dwordx4 a[104:107], v28, s[16:19], 0 offen offset:2048// 000000002A40: E05C1800 8084681C
	s_waitcnt lgkmcnt(0)                                       // 000000002A48: BF8CC07F
	s_barrier                                                  // 000000002A4C: BF8A0000
	ds_read_b32 v64, v10 offset:4224                           // 000000002A50: D86C1080 4000000A
	buffer_load_dwordx4 a[108:111], v28, s[16:19], 0 offen offset:3072// 000000002A58: E05C1C00 80846C1C
	ds_read_b32 v65, v10 offset:4288                           // 000000002A60: D86C10C0 4100000A
	ds_read_b32 v66, v10 offset:4352                           // 000000002A68: D86C1100 4200000A
	ds_read_b32 v67, v10 offset:4416                           // 000000002A70: D86C1140 4300000A
	ds_read_b32 v68, v10 offset:4480                           // 000000002A78: D86C1180 4400000A
	ds_read_b32 v69, v10 offset:4544                           // 000000002A80: D86C11C0 4500000A
	ds_read_b32 v70, v10 offset:4608                           // 000000002A88: D86C1200 4600000A
	ds_read_b32 v71, v10 offset:4672                           // 000000002A90: D86C1240 4700000A
	ds_read_b32 v72, v10 offset:4736                           // 000000002A98: D86C1280 4800000A
	buffer_load_dwordx4 a[112:115], v29, s[16:19], 0 offen     // 000000002AA0: E05C1000 8084701D
	ds_read_b32 v73, v10 offset:4800                           // 000000002AA8: D86C12C0 4900000A
	ds_read_b32 v74, v10 offset:4864                           // 000000002AB0: D86C1300 4A00000A
	ds_read_b32 v75, v10 offset:4928                           // 000000002AB8: D86C1340 4B00000A
	ds_read_b32 v76, v10 offset:4992                           // 000000002AC0: D86C1380 4C00000A
	ds_read_b32 v77, v10 offset:5056                           // 000000002AC8: D86C13C0 4D00000A
	ds_read_b32 v78, v10 offset:5120                           // 000000002AD0: D86C1400 4E00000A
	ds_read_b32 v79, v10 offset:5184                           // 000000002AD8: D86C1440 4F00000A
	buffer_load_dwordx4 a[116:119], v29, s[16:19], 0 offen offset:1024// 000000002AE0: E05C1400 8084741D
	buffer_load_dwordx4 a[120:123], v29, s[16:19], 0 offen offset:2048// 000000002AE8: E05C1800 8084781D
	s_waitcnt lgkmcnt(0)                                       // 000000002AF0: BF8CC07F
	v_max3_f32 v48, v64, v65, v48                              // 000000002AF4: D1D30030 04C28340
	v_max3_f32 v48, v66, v67, v48                              // 000000002AFC: D1D30030 04C28742
	v_max3_f32 v48, v68, v69, v48                              // 000000002B04: D1D30030 04C28B44
	v_max3_f32 v48, v70, v71, v48                              // 000000002B0C: D1D30030 04C28F46
	v_max3_f32 v48, v72, v73, v48                              // 000000002B14: D1D30030 04C29348
	v_max3_f32 v48, v74, v75, v48                              // 000000002B1C: D1D30030 04C2974A
	v_max3_f32 v48, v76, v77, v48                              // 000000002B24: D1D30030 04C29B4C
	v_max3_f32 v48, v78, v79, v48                              // 000000002B2C: D1D30030 04C29F4E
	buffer_load_dwordx4 a[124:127], v29, s[16:19], 0 offen offset:3072// 000000002B34: E05C1C00 80847C1D
	v_cmp_eq_u32_e64 s[40:41], v52, v14                        // 000000002B3C: D0CA0028 00021D34
	s_nop 1                                                    // 000000002B44: BF800001
	v_max_f32_e32 v15, v48, v14                                // 000000002B48: 161E1D30
	v_sub_f32_e32 v49, v14, v15                                // 000000002B4C: 04621F0E
	v_cndmask_b32_e64 v49, v49, 0, s[40:41]                    // 000000002B50: D1000031 00A10131
	v_mov_b32_e32 v14, v15                                     // 000000002B58: 7E1C030F
	v_mul_f32_e32 v50, s64, v15                                // 000000002B5C: 0A641E40
	v_mul_f32_e32 v49, s64, v49                                // 000000002B60: 0A626240
	v_exp_f32_e32 v49, v49                                     // 000000002B64: 7E624131
	buffer_load_dwordx4 a[192:195], v144, s[20:23], 0 offen    // 000000002B68: E05C1000 8085C090
	v_fma_f32 v96, v96, s64, -v50                              // 000000002B70: D1CB0060 84C88160
	v_fma_f32 v97, v97, s64, -v50                              // 000000002B78: D1CB0061 84C88161
	v_fma_f32 v98, v98, s64, -v50                              // 000000002B80: D1CB0062 84C88162
	v_fma_f32 v99, v99, s64, -v50                              // 000000002B88: D1CB0063 84C88163
	v_fma_f32 v100, v100, s64, -v50                            // 000000002B90: D1CB0064 84C88164
	v_fma_f32 v101, v101, s64, -v50                            // 000000002B98: D1CB0065 84C88165
	v_fma_f32 v102, v102, s64, -v50                            // 000000002BA0: D1CB0066 84C88166
	v_fma_f32 v103, v103, s64, -v50                            // 000000002BA8: D1CB0067 84C88167
	v_fma_f32 v104, v104, s64, -v50                            // 000000002BB0: D1CB0068 84C88168
	v_fma_f32 v105, v105, s64, -v50                            // 000000002BB8: D1CB0069 84C88169
	v_fma_f32 v106, v106, s64, -v50                            // 000000002BC0: D1CB006A 84C8816A
	v_fma_f32 v107, v107, s64, -v50                            // 000000002BC8: D1CB006B 84C8816B
	v_fma_f32 v108, v108, s64, -v50                            // 000000002BD0: D1CB006C 84C8816C
	v_fma_f32 v109, v109, s64, -v50                            // 000000002BD8: D1CB006D 84C8816D
	v_fma_f32 v110, v110, s64, -v50                            // 000000002BE0: D1CB006E 84C8816E
	v_fma_f32 v111, v111, s64, -v50                            // 000000002BE8: D1CB006F 84C8816F
	v_exp_f32_e32 v96, v96                                     // 000000002BF0: 7EC04160
	v_exp_f32_e32 v97, v97                                     // 000000002BF4: 7EC24161
	v_exp_f32_e32 v98, v98                                     // 000000002BF8: 7EC44162
	v_exp_f32_e32 v99, v99                                     // 000000002BFC: 7EC64163
	v_exp_f32_e32 v100, v100                                   // 000000002C00: 7EC84164
	v_exp_f32_e32 v101, v101                                   // 000000002C04: 7ECA4165
	v_exp_f32_e32 v102, v102                                   // 000000002C08: 7ECC4166
	v_exp_f32_e32 v103, v103                                   // 000000002C0C: 7ECE4167
	v_exp_f32_e32 v104, v104                                   // 000000002C10: 7ED04168
	v_exp_f32_e32 v105, v105                                   // 000000002C14: 7ED24169
	v_exp_f32_e32 v106, v106                                   // 000000002C18: 7ED4416A
	v_exp_f32_e32 v107, v107                                   // 000000002C1C: 7ED6416B
	v_exp_f32_e32 v108, v108                                   // 000000002C20: 7ED8416C
	v_exp_f32_e32 v109, v109                                   // 000000002C24: 7EDA416D
	v_exp_f32_e32 v110, v110                                   // 000000002C28: 7EDC416E
	v_exp_f32_e32 v111, v111                                   // 000000002C2C: 7EDE416F
	buffer_load_dwordx4 a[196:199], v145, s[20:23], 0 offen    // 000000002C30: E05C1000 8085C491
	v_mul_f32_e32 v42, v49, v42                                // 000000002C38: 0A545531
	v_mov_b32_e32 v43, v96                                     // 000000002C3C: 7E560360
	v_add_f32_e32 v43, v97, v43                                // 000000002C40: 02565761
	v_add_f32_e32 v43, v98, v43                                // 000000002C44: 02565762
	v_add_f32_e32 v43, v99, v43                                // 000000002C48: 02565763
	v_add_f32_e32 v43, v100, v43                               // 000000002C4C: 02565764
	v_add_f32_e32 v43, v101, v43                               // 000000002C50: 02565765
	v_add_f32_e32 v43, v102, v43                               // 000000002C54: 02565766
	v_add_f32_e32 v43, v103, v43                               // 000000002C58: 02565767
	v_add_f32_e32 v43, v104, v43                               // 000000002C5C: 02565768
	v_add_f32_e32 v43, v105, v43                               // 000000002C60: 02565769
	v_add_f32_e32 v43, v106, v43                               // 000000002C64: 0256576A
	v_add_f32_e32 v43, v107, v43                               // 000000002C68: 0256576B
	v_add_f32_e32 v43, v108, v43                               // 000000002C6C: 0256576C
	v_add_f32_e32 v43, v109, v43                               // 000000002C70: 0256576D
	v_add_f32_e32 v43, v110, v43                               // 000000002C74: 0256576E
	v_add_f32_e32 v43, v111, v43                               // 000000002C78: 0256576F
	v_add_f32_e32 v42, v43, v42                                // 000000002C7C: 0254552B
	buffer_load_dwordx4 a[200:203], v146, s[20:23], 0 offen    // 000000002C80: E05C1000 8085C892
	v_cmp_u_f32_e64 s[40:41], v96, v96                         // 000000002C88: D0480028 0002C160
	v_add3_u32 v18, v96, v21, 1                                // 000000002C90: D1FF0012 02062B60
	v_cndmask_b32_e64 v38, v18, v20, s[40:41]                  // 000000002C98: D1000026 00A22912
	v_cmp_u_f32_e64 s[40:41], v97, v97                         // 000000002CA0: D0480028 0002C361
	v_add3_u32 v18, v97, v21, 1                                // 000000002CA8: D1FF0012 02062B61
	v_cndmask_b32_e64 v39, v18, v20, s[40:41]                  // 000000002CB0: D1000027 00A22912
	v_perm_b32 v96, v39, v38, s52                              // 000000002CB8: D1ED0060 00D24D27
	v_cmp_u_f32_e64 s[40:41], v98, v98                         // 000000002CC0: D0480028 0002C562
	v_add3_u32 v18, v98, v21, 1                                // 000000002CC8: D1FF0012 02062B62
	v_cndmask_b32_e64 v38, v18, v20, s[40:41]                  // 000000002CD0: D1000026 00A22912
	v_cmp_u_f32_e64 s[40:41], v99, v99                         // 000000002CD8: D0480028 0002C763
	v_add3_u32 v18, v99, v21, 1                                // 000000002CE0: D1FF0012 02062B63
	v_cndmask_b32_e64 v39, v18, v20, s[40:41]                  // 000000002CE8: D1000027 00A22912
	v_perm_b32 v97, v39, v38, s52                              // 000000002CF0: D1ED0061 00D24D27
	v_cmp_u_f32_e64 s[40:41], v100, v100                       // 000000002CF8: D0480028 0002C964
	v_add3_u32 v18, v100, v21, 1                               // 000000002D00: D1FF0012 02062B64
	v_cndmask_b32_e64 v38, v18, v20, s[40:41]                  // 000000002D08: D1000026 00A22912
	v_cmp_u_f32_e64 s[40:41], v101, v101                       // 000000002D10: D0480028 0002CB65
	v_add3_u32 v18, v101, v21, 1                               // 000000002D18: D1FF0012 02062B65
	v_cndmask_b32_e64 v39, v18, v20, s[40:41]                  // 000000002D20: D1000027 00A22912
	v_perm_b32 v98, v39, v38, s52                              // 000000002D28: D1ED0062 00D24D27
	v_cmp_u_f32_e64 s[40:41], v102, v102                       // 000000002D30: D0480028 0002CD66
	v_add3_u32 v18, v102, v21, 1                               // 000000002D38: D1FF0012 02062B66
	v_cndmask_b32_e64 v38, v18, v20, s[40:41]                  // 000000002D40: D1000026 00A22912
	v_cmp_u_f32_e64 s[40:41], v103, v103                       // 000000002D48: D0480028 0002CF67
	v_add3_u32 v18, v103, v21, 1                               // 000000002D50: D1FF0012 02062B67
	v_cndmask_b32_e64 v39, v18, v20, s[40:41]                  // 000000002D58: D1000027 00A22912
	v_perm_b32 v99, v39, v38, s52                              // 000000002D60: D1ED0063 00D24D27
	v_cmp_u_f32_e64 s[40:41], v104, v104                       // 000000002D68: D0480028 0002D168
	v_add3_u32 v18, v104, v21, 1                               // 000000002D70: D1FF0012 02062B68
	v_cndmask_b32_e64 v38, v18, v20, s[40:41]                  // 000000002D78: D1000026 00A22912
	v_cmp_u_f32_e64 s[40:41], v105, v105                       // 000000002D80: D0480028 0002D369
	v_add3_u32 v18, v105, v21, 1                               // 000000002D88: D1FF0012 02062B69
	v_cndmask_b32_e64 v39, v18, v20, s[40:41]                  // 000000002D90: D1000027 00A22912
	v_perm_b32 v100, v39, v38, s52                             // 000000002D98: D1ED0064 00D24D27
	v_cmp_u_f32_e64 s[40:41], v106, v106                       // 000000002DA0: D0480028 0002D56A
	v_add3_u32 v18, v106, v21, 1                               // 000000002DA8: D1FF0012 02062B6A
	v_cndmask_b32_e64 v38, v18, v20, s[40:41]                  // 000000002DB0: D1000026 00A22912
	v_cmp_u_f32_e64 s[40:41], v107, v107                       // 000000002DB8: D0480028 0002D76B
	v_add3_u32 v18, v107, v21, 1                               // 000000002DC0: D1FF0012 02062B6B
	v_cndmask_b32_e64 v39, v18, v20, s[40:41]                  // 000000002DC8: D1000027 00A22912
	v_perm_b32 v101, v39, v38, s52                             // 000000002DD0: D1ED0065 00D24D27
	v_cmp_u_f32_e64 s[40:41], v108, v108                       // 000000002DD8: D0480028 0002D96C
	v_add3_u32 v18, v108, v21, 1                               // 000000002DE0: D1FF0012 02062B6C
	v_cndmask_b32_e64 v38, v18, v20, s[40:41]                  // 000000002DE8: D1000026 00A22912
	v_cmp_u_f32_e64 s[40:41], v109, v109                       // 000000002DF0: D0480028 0002DB6D
	v_add3_u32 v18, v109, v21, 1                               // 000000002DF8: D1FF0012 02062B6D
	v_cndmask_b32_e64 v39, v18, v20, s[40:41]                  // 000000002E00: D1000027 00A22912
	v_perm_b32 v102, v39, v38, s52                             // 000000002E08: D1ED0066 00D24D27
	v_cmp_u_f32_e64 s[40:41], v110, v110                       // 000000002E10: D0480028 0002DD6E
	v_add3_u32 v18, v110, v21, 1                               // 000000002E18: D1FF0012 02062B6E
	v_cndmask_b32_e64 v38, v18, v20, s[40:41]                  // 000000002E20: D1000026 00A22912
	v_cmp_u_f32_e64 s[40:41], v111, v111                       // 000000002E28: D0480028 0002DF6F
	v_add3_u32 v18, v111, v21, 1                               // 000000002E30: D1FF0012 02062B6F
	v_cndmask_b32_e64 v39, v18, v20, s[40:41]                  // 000000002E38: D1000027 00A22912
	v_perm_b32 v103, v39, v38, s52                             // 000000002E40: D1ED0067 00D24D27
	buffer_load_dwordx4 a[204:207], v147, s[20:23], 0 offen    // 000000002E48: E05C1000 8085CC93
	buffer_load_dwordx4 a[208:211], v148, s[20:23], 0 offen    // 000000002E50: E05C1000 8085D094
	ds_write_b64 v13, v[96:97] offset:5248                     // 000000002E58: D89A1480 0000600D
	ds_write_b64 v13, v[98:99] offset:7296                     // 000000002E60: D89A1C80 0000620D
	ds_write_b64 v13, v[100:101] offset:9344                   // 000000002E68: D89A2480 0000640D
	ds_write_b64 v13, v[102:103] offset:11392                  // 000000002E70: D89A2C80 0000660D
	buffer_load_dwordx4 a[212:215], v149, s[20:23], 0 offen    // 000000002E78: E05C1000 8085D495
	s_waitcnt lgkmcnt(0)                                       // 000000002E80: BF8CC07F
	s_barrier                                                  // 000000002E84: BF8A0000
	ds_read_b64 v[96:97], v12 offset:5248                      // 000000002E88: D8EC1480 6000000C
	ds_read_b64 v[98:99], v12 offset:5376                      // 000000002E90: D8EC1500 6200000C
	ds_read_b64 v[100:101], v12 offset:6272                    // 000000002E98: D8EC1880 6400000C
	ds_read_b64 v[102:103], v12 offset:6400                    // 000000002EA0: D8EC1900 6600000C
	ds_read_b64 v[104:105], v12 offset:7296                    // 000000002EA8: D8EC1C80 6800000C
	ds_read_b64 v[106:107], v12 offset:7424                    // 000000002EB0: D8EC1D00 6A00000C
	ds_read_b64 v[108:109], v12 offset:8320                    // 000000002EB8: D8EC2080 6C00000C
	ds_read_b64 v[110:111], v12 offset:8448                    // 000000002EC0: D8EC2100 6E00000C
	ds_read_b64 v[112:113], v12 offset:9344                    // 000000002EC8: D8EC2480 7000000C
	ds_read_b64 v[114:115], v12 offset:9472                    // 000000002ED0: D8EC2500 7200000C
	ds_read_b64 v[116:117], v12 offset:10368                   // 000000002ED8: D8EC2880 7400000C
	ds_read_b64 v[118:119], v12 offset:10496                   // 000000002EE0: D8EC2900 7600000C
	ds_read_b64 v[120:121], v12 offset:11392                   // 000000002EE8: D8EC2C80 7800000C
	ds_read_b64 v[122:123], v12 offset:11520                   // 000000002EF0: D8EC2D00 7A00000C
	ds_read_b64 v[124:125], v12 offset:12416                   // 000000002EF8: D8EC3080 7C00000C
	ds_read_b64 v[126:127], v12 offset:12544                   // 000000002F00: D8EC3100 7E00000C
	buffer_load_dwordx4 a[216:219], v150, s[20:23], 0 offen    // 000000002F08: E05C1000 8085D896
	buffer_load_dwordx4 a[220:223], v151, s[20:23], 0 offen    // 000000002F10: E05C1000 8085DC97
	s_waitcnt lgkmcnt(0)                                       // 000000002F18: BF8CC07F
	v_mul_f32_e32 v128, v49, v128                              // 000000002F1C: 0B010131
	v_mul_f32_e32 v129, v49, v129                              // 000000002F20: 0B030331
	v_mul_f32_e32 v130, v49, v130                              // 000000002F24: 0B050531
	v_mul_f32_e32 v131, v49, v131                              // 000000002F28: 0B070731
	v_mul_f32_e32 v132, v49, v132                              // 000000002F2C: 0B090931
	v_mul_f32_e32 v133, v49, v133                              // 000000002F30: 0B0B0B31
	v_mul_f32_e32 v134, v49, v134                              // 000000002F34: 0B0D0D31
	v_mul_f32_e32 v135, v49, v135                              // 000000002F38: 0B0F0F31
	s_waitcnt vmcnt(24)                                        // 000000002F3C: BF8C4F78
	v_mfma_f32_16x16x16_bf16 v[128:131], a[128:129], v[96:97], v[128:131]// 000000002F40: D3E10080 0E02C180
	v_mfma_f32_16x16x16_bf16 v[128:131], a[130:131], v[98:99], v[128:131]// 000000002F48: D3E10080 0E02C582
	buffer_load_dwordx4 a[224:227], v144, s[20:23], 0 offen offset:1024// 000000002F50: E05C1400 8085E090
	v_mfma_f32_16x16x16_bf16 v[128:131], a[132:133], v[100:101], v[128:131]// 000000002F58: D3E10080 0E02C984
	v_mfma_f32_16x16x16_bf16 v[128:131], a[134:135], v[102:103], v[128:131]// 000000002F60: D3E10080 0E02CD86
	v_mfma_f32_16x16x16_bf16 v[128:131], a[136:137], v[104:105], v[128:131]// 000000002F68: D3E10080 0E02D188
	v_mfma_f32_16x16x16_bf16 v[128:131], a[138:139], v[106:107], v[128:131]// 000000002F70: D3E10080 0E02D58A
	buffer_load_dwordx4 a[228:231], v145, s[20:23], 0 offen offset:1024// 000000002F78: E05C1400 8085E491
	v_mfma_f32_16x16x16_bf16 v[128:131], a[140:141], v[108:109], v[128:131]// 000000002F80: D3E10080 0E02D98C
	v_mfma_f32_16x16x16_bf16 v[128:131], a[142:143], v[110:111], v[128:131]// 000000002F88: D3E10080 0E02DD8E
	v_mfma_f32_16x16x16_bf16 v[128:131], a[144:145], v[112:113], v[128:131]// 000000002F90: D3E10080 0E02E190
	v_mfma_f32_16x16x16_bf16 v[128:131], a[146:147], v[114:115], v[128:131]// 000000002F98: D3E10080 0E02E592
	buffer_load_dwordx4 a[232:235], v146, s[20:23], 0 offen offset:1024// 000000002FA0: E05C1400 8085E892
	v_mfma_f32_16x16x16_bf16 v[128:131], a[148:149], v[116:117], v[128:131]// 000000002FA8: D3E10080 0E02E994
	v_mfma_f32_16x16x16_bf16 v[128:131], a[150:151], v[118:119], v[128:131]// 000000002FB0: D3E10080 0E02ED96
	v_mfma_f32_16x16x16_bf16 v[128:131], a[152:153], v[120:121], v[128:131]// 000000002FB8: D3E10080 0E02F198
	v_mfma_f32_16x16x16_bf16 v[128:131], a[154:155], v[122:123], v[128:131]// 000000002FC0: D3E10080 0E02F59A
	buffer_load_dwordx4 a[236:239], v147, s[20:23], 0 offen offset:1024// 000000002FC8: E05C1400 8085EC93
	v_mfma_f32_16x16x16_bf16 v[128:131], a[156:157], v[124:125], v[128:131]// 000000002FD0: D3E10080 0E02F99C
	v_mfma_f32_16x16x16_bf16 v[128:131], a[158:159], v[126:127], v[128:131]// 000000002FD8: D3E10080 0E02FD9E
	v_mfma_f32_16x16x16_bf16 v[132:135], a[160:161], v[96:97], v[132:135]// 000000002FE0: D3E10084 0E12C1A0
	v_mfma_f32_16x16x16_bf16 v[132:135], a[162:163], v[98:99], v[132:135]// 000000002FE8: D3E10084 0E12C5A2
	buffer_load_dwordx4 a[240:243], v148, s[20:23], 0 offen offset:1024// 000000002FF0: E05C1400 8085F094
	v_mfma_f32_16x16x16_bf16 v[132:135], a[164:165], v[100:101], v[132:135]// 000000002FF8: D3E10084 0E12C9A4
	v_mfma_f32_16x16x16_bf16 v[132:135], a[166:167], v[102:103], v[132:135]// 000000003000: D3E10084 0E12CDA6
	v_mfma_f32_16x16x16_bf16 v[132:135], a[168:169], v[104:105], v[132:135]// 000000003008: D3E10084 0E12D1A8
	v_mfma_f32_16x16x16_bf16 v[132:135], a[170:171], v[106:107], v[132:135]// 000000003010: D3E10084 0E12D5AA
	buffer_load_dwordx4 a[244:247], v149, s[20:23], 0 offen offset:1024// 000000003018: E05C1400 8085F495
	v_mfma_f32_16x16x16_bf16 v[132:135], a[172:173], v[108:109], v[132:135]// 000000003020: D3E10084 0E12D9AC
	v_mfma_f32_16x16x16_bf16 v[132:135], a[174:175], v[110:111], v[132:135]// 000000003028: D3E10084 0E12DDAE
	v_mfma_f32_16x16x16_bf16 v[132:135], a[176:177], v[112:113], v[132:135]// 000000003030: D3E10084 0E12E1B0
	v_mfma_f32_16x16x16_bf16 v[132:135], a[178:179], v[114:115], v[132:135]// 000000003038: D3E10084 0E12E5B2
	buffer_load_dwordx4 a[248:251], v150, s[20:23], 0 offen offset:1024// 000000003040: E05C1400 8085F896
	v_mfma_f32_16x16x16_bf16 v[132:135], a[180:181], v[116:117], v[132:135]// 000000003048: D3E10084 0E12E9B4
	v_mfma_f32_16x16x16_bf16 v[132:135], a[182:183], v[118:119], v[132:135]// 000000003050: D3E10084 0E12EDB6
	v_mfma_f32_16x16x16_bf16 v[132:135], a[184:185], v[120:121], v[132:135]// 000000003058: D3E10084 0E12F1B8
	v_mfma_f32_16x16x16_bf16 v[132:135], a[186:187], v[122:123], v[132:135]// 000000003060: D3E10084 0E12F5BA
	buffer_load_dwordx4 a[252:255], v151, s[20:23], 0 offen offset:1024// 000000003068: E05C1400 8085FC97
	v_mfma_f32_16x16x16_bf16 v[132:135], a[188:189], v[124:125], v[132:135]// 000000003070: D3E10084 0E12F9BC
	v_mfma_f32_16x16x16_bf16 v[132:135], a[190:191], v[126:127], v[132:135]// 000000003078: D3E10084 0E12FDBE
	s_lshr_b32 s60, s70, 4                                     // 000000003080: 8F3C8446
	s_add_u32 s60, 48, s60                                     // 000000003084: 803C3CB0
	s_cmp_ge_u32 s60, s73                                      // 000000003088: BF09493C
	s_cselect_b32 s56, 0, s56                                  // 00000000308C: 85383880
	v_mul_u32_u24_dpp v38, v16, v51 row_newbcast:0 row_mask:0xf bank_mask:0xf// 000000003090: 104C66FA FF015010
	v_mul_u32_u24_dpp v39, v16, v51 row_newbcast:4 row_mask:0xf bank_mask:0xf// 000000003098: 104E66FA FF015410
	v_mul_u32_u24_dpp v40, v16, v51 row_newbcast:8 row_mask:0xf bank_mask:0xf// 0000000030A0: 105066FA FF015810
	v_mul_u32_u24_dpp v41, v16, v51 row_newbcast:12 row_mask:0xf bank_mask:0xf// 0000000030A8: 105266FA FF015C10
	v_add_u32_e32 v22, v38, v6                                 // 0000000030B0: 682C0D26
	v_add_u32_e32 v23, v39, v6                                 // 0000000030B4: 682E0D27
	v_add_u32_e32 v24, v40, v6                                 // 0000000030B8: 68300D28
	v_add_u32_e32 v25, v41, v6                                 // 0000000030BC: 68320D29
	v_mul_u32_u24_dpp v38, v16, v51 row_newbcast:1 row_mask:0xf bank_mask:0xf// 0000000030C0: 104C66FA FF015110
	v_mul_u32_u24_dpp v39, v16, v51 row_newbcast:2 row_mask:0xf bank_mask:0xf// 0000000030C8: 104E66FA FF015210
	v_mul_u32_u24_dpp v40, v16, v51 row_newbcast:5 row_mask:0xf bank_mask:0xf// 0000000030D0: 105066FA FF015510
	v_mul_u32_u24_dpp v41, v16, v51 row_newbcast:6 row_mask:0xf bank_mask:0xf// 0000000030D8: 105266FA FF015610
	v_add_u32_e32 v136, v38, v7                                // 0000000030E0: 69100F26
	v_add_u32_e32 v137, v39, v7                                // 0000000030E4: 69120F27
	v_add_u32_e32 v138, v40, v7                                // 0000000030E8: 69140F28
	v_add_u32_e32 v139, v41, v7                                // 0000000030EC: 69160F29
	v_mul_u32_u24_dpp v38, v16, v51 row_newbcast:9 row_mask:0xf bank_mask:0xf// 0000000030F0: 104C66FA FF015910
	v_mul_u32_u24_dpp v39, v16, v51 row_newbcast:10 row_mask:0xf bank_mask:0xf// 0000000030F8: 104E66FA FF015A10
	v_mul_u32_u24_dpp v40, v16, v51 row_newbcast:13 row_mask:0xf bank_mask:0xf// 000000003100: 105066FA FF015D10
	v_mul_u32_u24_dpp v41, v16, v51 row_newbcast:7 row_mask:0xf bank_mask:0xf// 000000003108: 105266FA FF015710
	v_add_u32_e32 v140, v38, v7                                // 000000003110: 69180F26
	v_add_u32_e32 v141, v39, v7                                // 000000003114: 691A0F27
	v_add_u32_e32 v142, v40, v7                                // 000000003118: 691C0F28
	v_add_u32_e32 v143, v41, v7                                // 00000000311C: 691E0F29
	v_add_u32_e32 v1, s56, v1                                  // 000000003120: 68020238
	s_addk_i32 s70, 0x100                                      // 000000003124: B7460100
	s_cmp_lt_i32 s70, s71                                      // 000000003128: BF044746
	s_cbranch_scc0 label_05F4                                  // 00000000312C: BF840228
	s_waitcnt vmcnt(16) lgkmcnt(0)                             // 000000003130: BF8C4070
	v_mfma_f32_16x16x16_bf16 v[96:99], a[64:65], v[80:81], 0   // 000000003134: D3E10060 0A02A140
	v_mfma_f32_16x16x16_bf16 v[96:99], a[66:67], v[82:83], v[96:99]// 00000000313C: D3E10060 0D82A542
	buffer_load_dwordx4 a[0:3], v22, s[16:19], 0 offen         // 000000003144: E05C1000 80840016
	v_mfma_f32_16x16x16_bf16 v[96:99], a[68:69], v[84:85], v[96:99]// 00000000314C: D3E10060 0D82A944
	v_mfma_f32_16x16x16_bf16 v[96:99], a[70:71], v[86:87], v[96:99]// 000000003154: D3E10060 0D82AD46
	buffer_load_dword v17, v1, s[24:27], 0 offen               // 00000000315C: E0501000 80061101
	v_mfma_f32_16x16x16_bf16 v[96:99], a[72:73], v[88:89], v[96:99]// 000000003164: D3E10060 0D82B148
	v_mfma_f32_16x16x16_bf16 v[96:99], a[74:75], v[90:91], v[96:99]// 00000000316C: D3E10060 0D82B54A
	buffer_load_dwordx4 a[4:7], v22, s[16:19], 0 offen offset:1024// 000000003174: E05C1400 80840416
	v_mfma_f32_16x16x16_bf16 v[96:99], a[76:77], v[92:93], v[96:99]// 00000000317C: D3E10060 0D82B94C
	v_mfma_f32_16x16x16_bf16 v[96:99], a[78:79], v[94:95], v[96:99]// 000000003184: D3E10060 0D82BD4E
	v_mfma_f32_16x16x16_bf16 v[100:103], a[80:81], v[80:81], 0 // 00000000318C: D3E10064 0A02A150
	v_mfma_f32_16x16x16_bf16 v[100:103], a[82:83], v[82:83], v[100:103]// 000000003194: D3E10064 0D92A552
	buffer_load_dwordx4 a[8:11], v22, s[16:19], 0 offen offset:2048// 00000000319C: E05C1800 80840816
	v_mfma_f32_16x16x16_bf16 v[100:103], a[84:85], v[84:85], v[100:103]// 0000000031A4: D3E10064 0D92A954
	v_mfma_f32_16x16x16_bf16 v[100:103], a[86:87], v[86:87], v[100:103]// 0000000031AC: D3E10064 0D92AD56
	v_mfma_f32_16x16x16_bf16 v[100:103], a[88:89], v[88:89], v[100:103]// 0000000031B4: D3E10064 0D92B158
	v_mfma_f32_16x16x16_bf16 v[100:103], a[90:91], v[90:91], v[100:103]// 0000000031BC: D3E10064 0D92B55A
	buffer_load_dwordx4 a[12:15], v22, s[16:19], 0 offen offset:3072// 0000000031C4: E05C1C00 80840C16
	v_mfma_f32_16x16x16_bf16 v[100:103], a[92:93], v[92:93], v[100:103]// 0000000031CC: D3E10064 0D92B95C
	v_mfma_f32_16x16x16_bf16 v[100:103], a[94:95], v[94:95], v[100:103]// 0000000031D4: D3E10064 0D92BD5E
	v_mfma_f32_16x16x16_bf16 v[104:107], a[96:97], v[80:81], 0 // 0000000031DC: D3E10068 0A02A160
	v_mfma_f32_16x16x16_bf16 v[104:107], a[98:99], v[82:83], v[104:107]// 0000000031E4: D3E10068 0DA2A562
	buffer_load_dwordx4 a[16:19], v23, s[16:19], 0 offen       // 0000000031EC: E05C1000 80841017
	v_mfma_f32_16x16x16_bf16 v[104:107], a[100:101], v[84:85], v[104:107]// 0000000031F4: D3E10068 0DA2A964
	v_mfma_f32_16x16x16_bf16 v[104:107], a[102:103], v[86:87], v[104:107]// 0000000031FC: D3E10068 0DA2AD66
	v_mfma_f32_16x16x16_bf16 v[104:107], a[104:105], v[88:89], v[104:107]// 000000003204: D3E10068 0DA2B168
	v_mfma_f32_16x16x16_bf16 v[104:107], a[106:107], v[90:91], v[104:107]// 00000000320C: D3E10068 0DA2B56A
	buffer_load_dwordx4 a[20:23], v23, s[16:19], 0 offen offset:1024// 000000003214: E05C1400 80841417
	v_mfma_f32_16x16x16_bf16 v[104:107], a[108:109], v[92:93], v[104:107]// 00000000321C: D3E10068 0DA2B96C
	v_mfma_f32_16x16x16_bf16 v[104:107], a[110:111], v[94:95], v[104:107]// 000000003224: D3E10068 0DA2BD6E
	v_mfma_f32_16x16x16_bf16 v[108:111], a[112:113], v[80:81], 0// 00000000322C: D3E1006C 0A02A170
	v_mfma_f32_16x16x16_bf16 v[108:111], a[114:115], v[82:83], v[108:111]// 000000003234: D3E1006C 0DB2A572
	buffer_load_dwordx4 a[24:27], v23, s[16:19], 0 offen offset:2048// 00000000323C: E05C1800 80841817
	v_mfma_f32_16x16x16_bf16 v[108:111], a[116:117], v[84:85], v[108:111]// 000000003244: D3E1006C 0DB2A974
	v_mfma_f32_16x16x16_bf16 v[108:111], a[118:119], v[86:87], v[108:111]// 00000000324C: D3E1006C 0DB2AD76
	v_mfma_f32_16x16x16_bf16 v[108:111], a[120:121], v[88:89], v[108:111]// 000000003254: D3E1006C 0DB2B178
	v_mfma_f32_16x16x16_bf16 v[108:111], a[122:123], v[90:91], v[108:111]// 00000000325C: D3E1006C 0DB2B57A
	buffer_load_dwordx4 a[28:31], v23, s[16:19], 0 offen offset:3072// 000000003264: E05C1C00 80841C17
	v_mfma_f32_16x16x16_bf16 v[108:111], a[124:125], v[92:93], v[108:111]// 00000000326C: D3E1006C 0DB2B97C
	v_mfma_f32_16x16x16_bf16 v[108:111], a[126:127], v[94:95], v[108:111]// 000000003274: D3E1006C 0DB2BD7E
	buffer_load_dwordx4 a[32:35], v24, s[16:19], 0 offen       // 00000000327C: E05C1000 80842018
	s_nop 8                                                    // 000000003284: BF800008
	buffer_load_dwordx4 a[36:39], v24, s[16:19], 0 offen offset:1024// 000000003288: E05C1400 80842418
	v_mov_b32_e32 v48, v96                                     // 000000003290: 7E600360
	v_max3_f32 v48, v96, v97, v48                              // 000000003294: D1D30030 04C2C360
	v_max3_f32 v48, v98, v99, v48                              // 00000000329C: D1D30030 04C2C762
	v_max3_f32 v48, v100, v101, v48                            // 0000000032A4: D1D30030 04C2CB64
	v_max3_f32 v48, v102, v103, v48                            // 0000000032AC: D1D30030 04C2CF66
	v_max3_f32 v48, v104, v105, v48                            // 0000000032B4: D1D30030 04C2D368
	v_max3_f32 v48, v106, v107, v48                            // 0000000032BC: D1D30030 04C2D76A
	v_max3_f32 v48, v108, v109, v48                            // 0000000032C4: D1D30030 04C2DB6C
	v_max3_f32 v48, v110, v111, v48                            // 0000000032CC: D1D30030 04C2DF6E
	ds_write_b32 v11, v48 offset:4224                          // 0000000032D4: D81A1080 0000300B
	buffer_load_dwordx4 a[40:43], v24, s[16:19], 0 offen offset:2048// 0000000032DC: E05C1800 80842818
	s_waitcnt lgkmcnt(0)                                       // 0000000032E4: BF8CC07F
	s_barrier                                                  // 0000000032E8: BF8A0000
	ds_read_b32 v64, v10 offset:4224                           // 0000000032EC: D86C1080 4000000A
	buffer_load_dwordx4 a[44:47], v24, s[16:19], 0 offen offset:3072// 0000000032F4: E05C1C00 80842C18
	ds_read_b32 v65, v10 offset:4288                           // 0000000032FC: D86C10C0 4100000A
	ds_read_b32 v66, v10 offset:4352                           // 000000003304: D86C1100 4200000A
	ds_read_b32 v67, v10 offset:4416                           // 00000000330C: D86C1140 4300000A
	ds_read_b32 v68, v10 offset:4480                           // 000000003314: D86C1180 4400000A
	ds_read_b32 v69, v10 offset:4544                           // 00000000331C: D86C11C0 4500000A
	ds_read_b32 v70, v10 offset:4608                           // 000000003324: D86C1200 4600000A
	ds_read_b32 v71, v10 offset:4672                           // 00000000332C: D86C1240 4700000A
	ds_read_b32 v72, v10 offset:4736                           // 000000003334: D86C1280 4800000A
	buffer_load_dwordx4 a[48:51], v25, s[16:19], 0 offen       // 00000000333C: E05C1000 80843019
	ds_read_b32 v73, v10 offset:4800                           // 000000003344: D86C12C0 4900000A
	ds_read_b32 v74, v10 offset:4864                           // 00000000334C: D86C1300 4A00000A
	ds_read_b32 v75, v10 offset:4928                           // 000000003354: D86C1340 4B00000A
	ds_read_b32 v76, v10 offset:4992                           // 00000000335C: D86C1380 4C00000A
	ds_read_b32 v77, v10 offset:5056                           // 000000003364: D86C13C0 4D00000A
	ds_read_b32 v78, v10 offset:5120                           // 00000000336C: D86C1400 4E00000A
	ds_read_b32 v79, v10 offset:5184                           // 000000003374: D86C1440 4F00000A
	buffer_load_dwordx4 a[52:55], v25, s[16:19], 0 offen offset:1024// 00000000337C: E05C1400 80843419
	buffer_load_dwordx4 a[56:59], v25, s[16:19], 0 offen offset:2048// 000000003384: E05C1800 80843819
	s_waitcnt lgkmcnt(0)                                       // 00000000338C: BF8CC07F
	v_max3_f32 v48, v64, v65, v48                              // 000000003390: D1D30030 04C28340
	v_max3_f32 v48, v66, v67, v48                              // 000000003398: D1D30030 04C28742
	v_max3_f32 v48, v68, v69, v48                              // 0000000033A0: D1D30030 04C28B44
	v_max3_f32 v48, v70, v71, v48                              // 0000000033A8: D1D30030 04C28F46
	v_max3_f32 v48, v72, v73, v48                              // 0000000033B0: D1D30030 04C29348
	v_max3_f32 v48, v74, v75, v48                              // 0000000033B8: D1D30030 04C2974A
	v_max3_f32 v48, v76, v77, v48                              // 0000000033C0: D1D30030 04C29B4C
	v_max3_f32 v48, v78, v79, v48                              // 0000000033C8: D1D30030 04C29F4E
	buffer_load_dwordx4 a[60:63], v25, s[16:19], 0 offen offset:3072// 0000000033D0: E05C1C00 80843C19
	v_cmp_eq_u32_e64 s[40:41], v52, v14                        // 0000000033D8: D0CA0028 00021D34
	s_nop 1                                                    // 0000000033E0: BF800001
	v_max_f32_e32 v15, v48, v14                                // 0000000033E4: 161E1D30
	v_sub_f32_e32 v49, v14, v15                                // 0000000033E8: 04621F0E
	v_cndmask_b32_e64 v49, v49, 0, s[40:41]                    // 0000000033EC: D1000031 00A10131
	v_mov_b32_e32 v14, v15                                     // 0000000033F4: 7E1C030F
	v_mul_f32_e32 v50, s64, v15                                // 0000000033F8: 0A641E40
	v_mul_f32_e32 v49, s64, v49                                // 0000000033FC: 0A626240
	v_exp_f32_e32 v49, v49                                     // 000000003400: 7E624131
	buffer_load_dwordx4 a[128:131], v136, s[20:23], 0 offen    // 000000003404: E05C1000 80858088
	v_fma_f32 v96, v96, s64, -v50                              // 00000000340C: D1CB0060 84C88160
	v_fma_f32 v97, v97, s64, -v50                              // 000000003414: D1CB0061 84C88161
	v_fma_f32 v98, v98, s64, -v50                              // 00000000341C: D1CB0062 84C88162
	v_fma_f32 v99, v99, s64, -v50                              // 000000003424: D1CB0063 84C88163
	v_fma_f32 v100, v100, s64, -v50                            // 00000000342C: D1CB0064 84C88164
	v_fma_f32 v101, v101, s64, -v50                            // 000000003434: D1CB0065 84C88165
	v_fma_f32 v102, v102, s64, -v50                            // 00000000343C: D1CB0066 84C88166
	v_fma_f32 v103, v103, s64, -v50                            // 000000003444: D1CB0067 84C88167
	v_fma_f32 v104, v104, s64, -v50                            // 00000000344C: D1CB0068 84C88168
	v_fma_f32 v105, v105, s64, -v50                            // 000000003454: D1CB0069 84C88169
	v_fma_f32 v106, v106, s64, -v50                            // 00000000345C: D1CB006A 84C8816A
	v_fma_f32 v107, v107, s64, -v50                            // 000000003464: D1CB006B 84C8816B
	v_fma_f32 v108, v108, s64, -v50                            // 00000000346C: D1CB006C 84C8816C
	v_fma_f32 v109, v109, s64, -v50                            // 000000003474: D1CB006D 84C8816D
	v_fma_f32 v110, v110, s64, -v50                            // 00000000347C: D1CB006E 84C8816E
	v_fma_f32 v111, v111, s64, -v50                            // 000000003484: D1CB006F 84C8816F
	v_exp_f32_e32 v96, v96                                     // 00000000348C: 7EC04160
	v_exp_f32_e32 v97, v97                                     // 000000003490: 7EC24161
	v_exp_f32_e32 v98, v98                                     // 000000003494: 7EC44162
	v_exp_f32_e32 v99, v99                                     // 000000003498: 7EC64163
	v_exp_f32_e32 v100, v100                                   // 00000000349C: 7EC84164
	v_exp_f32_e32 v101, v101                                   // 0000000034A0: 7ECA4165
	v_exp_f32_e32 v102, v102                                   // 0000000034A4: 7ECC4166
	v_exp_f32_e32 v103, v103                                   // 0000000034A8: 7ECE4167
	v_exp_f32_e32 v104, v104                                   // 0000000034AC: 7ED04168
	v_exp_f32_e32 v105, v105                                   // 0000000034B0: 7ED24169
	v_exp_f32_e32 v106, v106                                   // 0000000034B4: 7ED4416A
	v_exp_f32_e32 v107, v107                                   // 0000000034B8: 7ED6416B
	v_exp_f32_e32 v108, v108                                   // 0000000034BC: 7ED8416C
	v_exp_f32_e32 v109, v109                                   // 0000000034C0: 7EDA416D
	v_exp_f32_e32 v110, v110                                   // 0000000034C4: 7EDC416E
	v_exp_f32_e32 v111, v111                                   // 0000000034C8: 7EDE416F
	buffer_load_dwordx4 a[132:135], v137, s[20:23], 0 offen    // 0000000034CC: E05C1000 80858489
	v_mul_f32_e32 v42, v49, v42                                // 0000000034D4: 0A545531
	v_mov_b32_e32 v43, v96                                     // 0000000034D8: 7E560360
	v_add_f32_e32 v43, v97, v43                                // 0000000034DC: 02565761
	v_add_f32_e32 v43, v98, v43                                // 0000000034E0: 02565762
	v_add_f32_e32 v43, v99, v43                                // 0000000034E4: 02565763
	v_add_f32_e32 v43, v100, v43                               // 0000000034E8: 02565764
	v_add_f32_e32 v43, v101, v43                               // 0000000034EC: 02565765
	v_add_f32_e32 v43, v102, v43                               // 0000000034F0: 02565766
	v_add_f32_e32 v43, v103, v43                               // 0000000034F4: 02565767
	v_add_f32_e32 v43, v104, v43                               // 0000000034F8: 02565768
	v_add_f32_e32 v43, v105, v43                               // 0000000034FC: 02565769
	v_add_f32_e32 v43, v106, v43                               // 000000003500: 0256576A
	v_add_f32_e32 v43, v107, v43                               // 000000003504: 0256576B
	v_add_f32_e32 v43, v108, v43                               // 000000003508: 0256576C
	v_add_f32_e32 v43, v109, v43                               // 00000000350C: 0256576D
	v_add_f32_e32 v43, v110, v43                               // 000000003510: 0256576E
	v_add_f32_e32 v43, v111, v43                               // 000000003514: 0256576F
	v_add_f32_e32 v42, v43, v42                                // 000000003518: 0254552B
	buffer_load_dwordx4 a[136:139], v138, s[20:23], 0 offen    // 00000000351C: E05C1000 8085888A
	v_cmp_u_f32_e64 s[40:41], v96, v96                         // 000000003524: D0480028 0002C160
	v_add3_u32 v18, v96, v21, 1                                // 00000000352C: D1FF0012 02062B60
	v_cndmask_b32_e64 v38, v18, v20, s[40:41]                  // 000000003534: D1000026 00A22912
	v_cmp_u_f32_e64 s[40:41], v97, v97                         // 00000000353C: D0480028 0002C361
	v_add3_u32 v18, v97, v21, 1                                // 000000003544: D1FF0012 02062B61
	v_cndmask_b32_e64 v39, v18, v20, s[40:41]                  // 00000000354C: D1000027 00A22912
	v_perm_b32 v96, v39, v38, s52                              // 000000003554: D1ED0060 00D24D27
	v_cmp_u_f32_e64 s[40:41], v98, v98                         // 00000000355C: D0480028 0002C562
	v_add3_u32 v18, v98, v21, 1                                // 000000003564: D1FF0012 02062B62
	v_cndmask_b32_e64 v38, v18, v20, s[40:41]                  // 00000000356C: D1000026 00A22912
	v_cmp_u_f32_e64 s[40:41], v99, v99                         // 000000003574: D0480028 0002C763
	v_add3_u32 v18, v99, v21, 1                                // 00000000357C: D1FF0012 02062B63
	v_cndmask_b32_e64 v39, v18, v20, s[40:41]                  // 000000003584: D1000027 00A22912
	v_perm_b32 v97, v39, v38, s52                              // 00000000358C: D1ED0061 00D24D27
	v_cmp_u_f32_e64 s[40:41], v100, v100                       // 000000003594: D0480028 0002C964
	v_add3_u32 v18, v100, v21, 1                               // 00000000359C: D1FF0012 02062B64
	v_cndmask_b32_e64 v38, v18, v20, s[40:41]                  // 0000000035A4: D1000026 00A22912
	v_cmp_u_f32_e64 s[40:41], v101, v101                       // 0000000035AC: D0480028 0002CB65
	v_add3_u32 v18, v101, v21, 1                               // 0000000035B4: D1FF0012 02062B65
	v_cndmask_b32_e64 v39, v18, v20, s[40:41]                  // 0000000035BC: D1000027 00A22912
	v_perm_b32 v98, v39, v38, s52                              // 0000000035C4: D1ED0062 00D24D27
	v_cmp_u_f32_e64 s[40:41], v102, v102                       // 0000000035CC: D0480028 0002CD66
	v_add3_u32 v18, v102, v21, 1                               // 0000000035D4: D1FF0012 02062B66
	v_cndmask_b32_e64 v38, v18, v20, s[40:41]                  // 0000000035DC: D1000026 00A22912
	v_cmp_u_f32_e64 s[40:41], v103, v103                       // 0000000035E4: D0480028 0002CF67
	v_add3_u32 v18, v103, v21, 1                               // 0000000035EC: D1FF0012 02062B67
	v_cndmask_b32_e64 v39, v18, v20, s[40:41]                  // 0000000035F4: D1000027 00A22912
	v_perm_b32 v99, v39, v38, s52                              // 0000000035FC: D1ED0063 00D24D27
	v_cmp_u_f32_e64 s[40:41], v104, v104                       // 000000003604: D0480028 0002D168
	v_add3_u32 v18, v104, v21, 1                               // 00000000360C: D1FF0012 02062B68
	v_cndmask_b32_e64 v38, v18, v20, s[40:41]                  // 000000003614: D1000026 00A22912
	v_cmp_u_f32_e64 s[40:41], v105, v105                       // 00000000361C: D0480028 0002D369
	v_add3_u32 v18, v105, v21, 1                               // 000000003624: D1FF0012 02062B69
	v_cndmask_b32_e64 v39, v18, v20, s[40:41]                  // 00000000362C: D1000027 00A22912
	v_perm_b32 v100, v39, v38, s52                             // 000000003634: D1ED0064 00D24D27
	v_cmp_u_f32_e64 s[40:41], v106, v106                       // 00000000363C: D0480028 0002D56A
	v_add3_u32 v18, v106, v21, 1                               // 000000003644: D1FF0012 02062B6A
	v_cndmask_b32_e64 v38, v18, v20, s[40:41]                  // 00000000364C: D1000026 00A22912
	v_cmp_u_f32_e64 s[40:41], v107, v107                       // 000000003654: D0480028 0002D76B
	v_add3_u32 v18, v107, v21, 1                               // 00000000365C: D1FF0012 02062B6B
	v_cndmask_b32_e64 v39, v18, v20, s[40:41]                  // 000000003664: D1000027 00A22912
	v_perm_b32 v101, v39, v38, s52                             // 00000000366C: D1ED0065 00D24D27
	v_cmp_u_f32_e64 s[40:41], v108, v108                       // 000000003674: D0480028 0002D96C
	v_add3_u32 v18, v108, v21, 1                               // 00000000367C: D1FF0012 02062B6C
	v_cndmask_b32_e64 v38, v18, v20, s[40:41]                  // 000000003684: D1000026 00A22912
	v_cmp_u_f32_e64 s[40:41], v109, v109                       // 00000000368C: D0480028 0002DB6D
	v_add3_u32 v18, v109, v21, 1                               // 000000003694: D1FF0012 02062B6D
	v_cndmask_b32_e64 v39, v18, v20, s[40:41]                  // 00000000369C: D1000027 00A22912
	v_perm_b32 v102, v39, v38, s52                             // 0000000036A4: D1ED0066 00D24D27
	v_cmp_u_f32_e64 s[40:41], v110, v110                       // 0000000036AC: D0480028 0002DD6E
	v_add3_u32 v18, v110, v21, 1                               // 0000000036B4: D1FF0012 02062B6E
	v_cndmask_b32_e64 v38, v18, v20, s[40:41]                  // 0000000036BC: D1000026 00A22912
	v_cmp_u_f32_e64 s[40:41], v111, v111                       // 0000000036C4: D0480028 0002DF6F
	v_add3_u32 v18, v111, v21, 1                               // 0000000036CC: D1FF0012 02062B6F
	v_cndmask_b32_e64 v39, v18, v20, s[40:41]                  // 0000000036D4: D1000027 00A22912
	v_perm_b32 v103, v39, v38, s52                             // 0000000036DC: D1ED0067 00D24D27
	buffer_load_dwordx4 a[140:143], v139, s[20:23], 0 offen    // 0000000036E4: E05C1000 80858C8B
	buffer_load_dwordx4 a[144:147], v140, s[20:23], 0 offen    // 0000000036EC: E05C1000 8085908C
	ds_write_b64 v13, v[96:97] offset:5248                     // 0000000036F4: D89A1480 0000600D
	ds_write_b64 v13, v[98:99] offset:7296                     // 0000000036FC: D89A1C80 0000620D
	ds_write_b64 v13, v[100:101] offset:9344                   // 000000003704: D89A2480 0000640D
	ds_write_b64 v13, v[102:103] offset:11392                  // 00000000370C: D89A2C80 0000660D
	buffer_load_dwordx4 a[148:151], v141, s[20:23], 0 offen    // 000000003714: E05C1000 8085948D
	s_waitcnt lgkmcnt(0)                                       // 00000000371C: BF8CC07F
	s_barrier                                                  // 000000003720: BF8A0000
	ds_read_b64 v[96:97], v12 offset:5248                      // 000000003724: D8EC1480 6000000C
	ds_read_b64 v[98:99], v12 offset:5376                      // 00000000372C: D8EC1500 6200000C
	ds_read_b64 v[100:101], v12 offset:6272                    // 000000003734: D8EC1880 6400000C
	ds_read_b64 v[102:103], v12 offset:6400                    // 00000000373C: D8EC1900 6600000C
	ds_read_b64 v[104:105], v12 offset:7296                    // 000000003744: D8EC1C80 6800000C
	ds_read_b64 v[106:107], v12 offset:7424                    // 00000000374C: D8EC1D00 6A00000C
	ds_read_b64 v[108:109], v12 offset:8320                    // 000000003754: D8EC2080 6C00000C
	ds_read_b64 v[110:111], v12 offset:8448                    // 00000000375C: D8EC2100 6E00000C
	ds_read_b64 v[112:113], v12 offset:9344                    // 000000003764: D8EC2480 7000000C
	ds_read_b64 v[114:115], v12 offset:9472                    // 00000000376C: D8EC2500 7200000C
	ds_read_b64 v[116:117], v12 offset:10368                   // 000000003774: D8EC2880 7400000C
	ds_read_b64 v[118:119], v12 offset:10496                   // 00000000377C: D8EC2900 7600000C
	ds_read_b64 v[120:121], v12 offset:11392                   // 000000003784: D8EC2C80 7800000C
	ds_read_b64 v[122:123], v12 offset:11520                   // 00000000378C: D8EC2D00 7A00000C
	ds_read_b64 v[124:125], v12 offset:12416                   // 000000003794: D8EC3080 7C00000C
	ds_read_b64 v[126:127], v12 offset:12544                   // 00000000379C: D8EC3100 7E00000C
	buffer_load_dwordx4 a[152:155], v142, s[20:23], 0 offen    // 0000000037A4: E05C1000 8085988E
	buffer_load_dwordx4 a[156:159], v143, s[20:23], 0 offen    // 0000000037AC: E05C1000 80859C8F
	s_waitcnt lgkmcnt(0)                                       // 0000000037B4: BF8CC07F
	v_mul_f32_e32 v128, v49, v128                              // 0000000037B8: 0B010131
	v_mul_f32_e32 v129, v49, v129                              // 0000000037BC: 0B030331
	v_mul_f32_e32 v130, v49, v130                              // 0000000037C0: 0B050531
	v_mul_f32_e32 v131, v49, v131                              // 0000000037C4: 0B070731
	v_mul_f32_e32 v132, v49, v132                              // 0000000037C8: 0B090931
	v_mul_f32_e32 v133, v49, v133                              // 0000000037CC: 0B0B0B31
	v_mul_f32_e32 v134, v49, v134                              // 0000000037D0: 0B0D0D31
	v_mul_f32_e32 v135, v49, v135                              // 0000000037D4: 0B0F0F31
	s_waitcnt vmcnt(24)                                        // 0000000037D8: BF8C4F78
	v_mfma_f32_16x16x16_bf16 v[128:131], a[192:193], v[96:97], v[128:131]// 0000000037DC: D3E10080 0E02C1C0
	v_mfma_f32_16x16x16_bf16 v[128:131], a[194:195], v[98:99], v[128:131]// 0000000037E4: D3E10080 0E02C5C2
	buffer_load_dwordx4 a[160:163], v136, s[20:23], 0 offen offset:1024// 0000000037EC: E05C1400 8085A088
	v_mfma_f32_16x16x16_bf16 v[128:131], a[196:197], v[100:101], v[128:131]// 0000000037F4: D3E10080 0E02C9C4
	v_mfma_f32_16x16x16_bf16 v[128:131], a[198:199], v[102:103], v[128:131]// 0000000037FC: D3E10080 0E02CDC6
	v_mfma_f32_16x16x16_bf16 v[128:131], a[200:201], v[104:105], v[128:131]// 000000003804: D3E10080 0E02D1C8
	v_mfma_f32_16x16x16_bf16 v[128:131], a[202:203], v[106:107], v[128:131]// 00000000380C: D3E10080 0E02D5CA
	buffer_load_dwordx4 a[164:167], v137, s[20:23], 0 offen offset:1024// 000000003814: E05C1400 8085A489
	v_mfma_f32_16x16x16_bf16 v[128:131], a[204:205], v[108:109], v[128:131]// 00000000381C: D3E10080 0E02D9CC
	v_mfma_f32_16x16x16_bf16 v[128:131], a[206:207], v[110:111], v[128:131]// 000000003824: D3E10080 0E02DDCE
	v_mfma_f32_16x16x16_bf16 v[128:131], a[208:209], v[112:113], v[128:131]// 00000000382C: D3E10080 0E02E1D0
	v_mfma_f32_16x16x16_bf16 v[128:131], a[210:211], v[114:115], v[128:131]// 000000003834: D3E10080 0E02E5D2
	buffer_load_dwordx4 a[168:171], v138, s[20:23], 0 offen offset:1024// 00000000383C: E05C1400 8085A88A
	v_mfma_f32_16x16x16_bf16 v[128:131], a[212:213], v[116:117], v[128:131]// 000000003844: D3E10080 0E02E9D4
	v_mfma_f32_16x16x16_bf16 v[128:131], a[214:215], v[118:119], v[128:131]// 00000000384C: D3E10080 0E02EDD6
	v_mfma_f32_16x16x16_bf16 v[128:131], a[216:217], v[120:121], v[128:131]// 000000003854: D3E10080 0E02F1D8
	v_mfma_f32_16x16x16_bf16 v[128:131], a[218:219], v[122:123], v[128:131]// 00000000385C: D3E10080 0E02F5DA
	buffer_load_dwordx4 a[172:175], v139, s[20:23], 0 offen offset:1024// 000000003864: E05C1400 8085AC8B
	v_mfma_f32_16x16x16_bf16 v[128:131], a[220:221], v[124:125], v[128:131]// 00000000386C: D3E10080 0E02F9DC
	v_mfma_f32_16x16x16_bf16 v[128:131], a[222:223], v[126:127], v[128:131]// 000000003874: D3E10080 0E02FDDE
	v_mfma_f32_16x16x16_bf16 v[132:135], a[224:225], v[96:97], v[132:135]// 00000000387C: D3E10084 0E12C1E0
	v_mfma_f32_16x16x16_bf16 v[132:135], a[226:227], v[98:99], v[132:135]// 000000003884: D3E10084 0E12C5E2
	buffer_load_dwordx4 a[176:179], v140, s[20:23], 0 offen offset:1024// 00000000388C: E05C1400 8085B08C
	v_mfma_f32_16x16x16_bf16 v[132:135], a[228:229], v[100:101], v[132:135]// 000000003894: D3E10084 0E12C9E4
	v_mfma_f32_16x16x16_bf16 v[132:135], a[230:231], v[102:103], v[132:135]// 00000000389C: D3E10084 0E12CDE6
	v_mfma_f32_16x16x16_bf16 v[132:135], a[232:233], v[104:105], v[132:135]// 0000000038A4: D3E10084 0E12D1E8
	v_mfma_f32_16x16x16_bf16 v[132:135], a[234:235], v[106:107], v[132:135]// 0000000038AC: D3E10084 0E12D5EA
	buffer_load_dwordx4 a[180:183], v141, s[20:23], 0 offen offset:1024// 0000000038B4: E05C1400 8085B48D
	v_mfma_f32_16x16x16_bf16 v[132:135], a[236:237], v[108:109], v[132:135]// 0000000038BC: D3E10084 0E12D9EC
	v_mfma_f32_16x16x16_bf16 v[132:135], a[238:239], v[110:111], v[132:135]// 0000000038C4: D3E10084 0E12DDEE
	v_mfma_f32_16x16x16_bf16 v[132:135], a[240:241], v[112:113], v[132:135]// 0000000038CC: D3E10084 0E12E1F0
	v_mfma_f32_16x16x16_bf16 v[132:135], a[242:243], v[114:115], v[132:135]// 0000000038D4: D3E10084 0E12E5F2
	buffer_load_dwordx4 a[184:187], v142, s[20:23], 0 offen offset:1024// 0000000038DC: E05C1400 8085B88E
	v_mfma_f32_16x16x16_bf16 v[132:135], a[244:245], v[116:117], v[132:135]// 0000000038E4: D3E10084 0E12E9F4
	v_mfma_f32_16x16x16_bf16 v[132:135], a[246:247], v[118:119], v[132:135]// 0000000038EC: D3E10084 0E12EDF6
	v_mfma_f32_16x16x16_bf16 v[132:135], a[248:249], v[120:121], v[132:135]// 0000000038F4: D3E10084 0E12F1F8
	v_mfma_f32_16x16x16_bf16 v[132:135], a[250:251], v[122:123], v[132:135]// 0000000038FC: D3E10084 0E12F5FA
	buffer_load_dwordx4 a[188:191], v143, s[20:23], 0 offen offset:1024// 000000003904: E05C1400 8085BC8F
	v_mfma_f32_16x16x16_bf16 v[132:135], a[252:253], v[124:125], v[132:135]// 00000000390C: D3E10084 0E12F9FC
	v_mfma_f32_16x16x16_bf16 v[132:135], a[254:255], v[126:127], v[132:135]// 000000003914: D3E10084 0E12FDFE
	s_lshr_b32 s60, s70, 4                                     // 00000000391C: 8F3C8446
	s_add_u32 s60, 48, s60                                     // 000000003920: 803C3CB0
	s_cmp_ge_u32 s60, s73                                      // 000000003924: BF09493C
	s_cselect_b32 s56, 0, s56                                  // 000000003928: 85383880
	v_mul_u32_u24_dpp v38, v17, v51 row_newbcast:0 row_mask:0xf bank_mask:0xf// 00000000392C: 104C66FA FF015011
	v_mul_u32_u24_dpp v39, v17, v51 row_newbcast:4 row_mask:0xf bank_mask:0xf// 000000003934: 104E66FA FF015411
	v_mul_u32_u24_dpp v40, v17, v51 row_newbcast:8 row_mask:0xf bank_mask:0xf// 00000000393C: 105066FA FF015811
	v_mul_u32_u24_dpp v41, v17, v51 row_newbcast:12 row_mask:0xf bank_mask:0xf// 000000003944: 105266FA FF015C11
	v_add_u32_e32 v26, v38, v6                                 // 00000000394C: 68340D26
	v_add_u32_e32 v27, v39, v6                                 // 000000003950: 68360D27
	v_add_u32_e32 v28, v40, v6                                 // 000000003954: 68380D28
	v_add_u32_e32 v29, v41, v6                                 // 000000003958: 683A0D29
	v_mul_u32_u24_dpp v38, v17, v51 row_newbcast:1 row_mask:0xf bank_mask:0xf// 00000000395C: 104C66FA FF015111
	v_mul_u32_u24_dpp v39, v17, v51 row_newbcast:2 row_mask:0xf bank_mask:0xf// 000000003964: 104E66FA FF015211
	v_mul_u32_u24_dpp v40, v17, v51 row_newbcast:5 row_mask:0xf bank_mask:0xf// 00000000396C: 105066FA FF015511
	v_mul_u32_u24_dpp v41, v17, v51 row_newbcast:6 row_mask:0xf bank_mask:0xf// 000000003974: 105266FA FF015611
	v_add_u32_e32 v144, v38, v7                                // 00000000397C: 69200F26
	v_add_u32_e32 v145, v39, v7                                // 000000003980: 69220F27
	v_add_u32_e32 v146, v40, v7                                // 000000003984: 69240F28
	v_add_u32_e32 v147, v41, v7                                // 000000003988: 69260F29
	v_mul_u32_u24_dpp v38, v17, v51 row_newbcast:9 row_mask:0xf bank_mask:0xf// 00000000398C: 104C66FA FF015911
	v_mul_u32_u24_dpp v39, v17, v51 row_newbcast:10 row_mask:0xf bank_mask:0xf// 000000003994: 104E66FA FF015A11
	v_mul_u32_u24_dpp v40, v17, v51 row_newbcast:13 row_mask:0xf bank_mask:0xf// 00000000399C: 105066FA FF015D11
	v_mul_u32_u24_dpp v41, v17, v51 row_newbcast:7 row_mask:0xf bank_mask:0xf// 0000000039A4: 105266FA FF015711
	v_add_u32_e32 v148, v38, v7                                // 0000000039AC: 69280F26
	v_add_u32_e32 v149, v39, v7                                // 0000000039B0: 692A0F27
	v_add_u32_e32 v150, v40, v7                                // 0000000039B4: 692C0F28
	v_add_u32_e32 v151, v41, v7                                // 0000000039B8: 692E0F29
	v_add_u32_e32 v1, s56, v1                                  // 0000000039BC: 68020238
	s_addk_i32 s70, 0x100                                      // 0000000039C0: B7460100
	s_cmp_lt_i32 s70, s71                                      // 0000000039C4: BF044746
	s_cbranch_scc0 label_05F4                                  // 0000000039C8: BF840001
	s_branch label_01A5                                        // 0000000039CC: BF82FBB1

00000000000039d0 <label_05F4>:
	s_nop 0                                                    // 0000000039D0: BF800000
	s_nop 0                                                    // 0000000039D4: BF800000
	s_branch label_0A46                                        // 0000000039D8: BF82044F

00000000000039dc <label_05F7>:
	s_waitcnt vmcnt(16) lgkmcnt(0)                             // 0000000039DC: BF8C4070
	v_mfma_f32_16x16x16_bf16 v[96:99], a[0:1], v[80:81], 0     // 0000000039E0: D3E10060 0A02A100
	buffer_load_dwordx4 a[64:67], v26, s[16:19], 0 offen       // 0000000039E8: E05C1000 8084401A
	v_mfma_f32_16x16x16_bf16 v[96:99], a[2:3], v[82:83], v[96:99]// 0000000039F0: D3E10060 0D82A502
	v_mfma_f32_16x16x16_bf16 v[96:99], a[4:5], v[84:85], v[96:99]// 0000000039F8: D3E10060 0D82A904
	buffer_load_dword v16, v1, s[24:27], 0 offen               // 000000003A00: E0501000 80061001
	v_mfma_f32_16x16x16_bf16 v[96:99], a[6:7], v[86:87], v[96:99]// 000000003A08: D3E10060 0D82AD06
	v_mfma_f32_16x16x16_bf16 v[96:99], a[8:9], v[88:89], v[96:99]// 000000003A10: D3E10060 0D82B108
	buffer_load_dwordx4 a[68:71], v26, s[16:19], 0 offen offset:1024// 000000003A18: E05C1400 8084441A
	v_mfma_f32_16x16x16_bf16 v[96:99], a[10:11], v[90:91], v[96:99]// 000000003A20: D3E10060 0D82B50A
	v_mfma_f32_16x16x16_bf16 v[96:99], a[12:13], v[92:93], v[96:99]// 000000003A28: D3E10060 0D82B90C
	v_mfma_f32_16x16x16_bf16 v[96:99], a[14:15], v[94:95], v[96:99]// 000000003A30: D3E10060 0D82BD0E
	v_mfma_f32_16x16x16_bf16 v[100:103], a[16:17], v[80:81], 0 // 000000003A38: D3E10064 0A02A110
	buffer_load_dwordx4 a[72:75], v26, s[16:19], 0 offen offset:2048// 000000003A40: E05C1800 8084481A
	v_mfma_f32_16x16x16_bf16 v[100:103], a[18:19], v[82:83], v[100:103]// 000000003A48: D3E10064 0D92A512
	v_mfma_f32_16x16x16_bf16 v[100:103], a[20:21], v[84:85], v[100:103]// 000000003A50: D3E10064 0D92A914
	v_mfma_f32_16x16x16_bf16 v[100:103], a[22:23], v[86:87], v[100:103]// 000000003A58: D3E10064 0D92AD16
	v_mfma_f32_16x16x16_bf16 v[100:103], a[24:25], v[88:89], v[100:103]// 000000003A60: D3E10064 0D92B118
	buffer_load_dwordx4 a[76:79], v26, s[16:19], 0 offen offset:3072// 000000003A68: E05C1C00 80844C1A
	v_mfma_f32_16x16x16_bf16 v[100:103], a[26:27], v[90:91], v[100:103]// 000000003A70: D3E10064 0D92B51A
	v_mfma_f32_16x16x16_bf16 v[100:103], a[28:29], v[92:93], v[100:103]// 000000003A78: D3E10064 0D92B91C
	v_mfma_f32_16x16x16_bf16 v[100:103], a[30:31], v[94:95], v[100:103]// 000000003A80: D3E10064 0D92BD1E
	v_mfma_f32_16x16x16_bf16 v[104:107], a[32:33], v[80:81], 0 // 000000003A88: D3E10068 0A02A120
	buffer_load_dwordx4 a[80:83], v27, s[16:19], 0 offen       // 000000003A90: E05C1000 8084501B
	v_mfma_f32_16x16x16_bf16 v[104:107], a[34:35], v[82:83], v[104:107]// 000000003A98: D3E10068 0DA2A522
	v_mfma_f32_16x16x16_bf16 v[104:107], a[36:37], v[84:85], v[104:107]// 000000003AA0: D3E10068 0DA2A924
	v_mfma_f32_16x16x16_bf16 v[104:107], a[38:39], v[86:87], v[104:107]// 000000003AA8: D3E10068 0DA2AD26
	v_mfma_f32_16x16x16_bf16 v[104:107], a[40:41], v[88:89], v[104:107]// 000000003AB0: D3E10068 0DA2B128
	buffer_load_dwordx4 a[84:87], v27, s[16:19], 0 offen offset:1024// 000000003AB8: E05C1400 8084541B
	v_mfma_f32_16x16x16_bf16 v[104:107], a[42:43], v[90:91], v[104:107]// 000000003AC0: D3E10068 0DA2B52A
	v_mfma_f32_16x16x16_bf16 v[104:107], a[44:45], v[92:93], v[104:107]// 000000003AC8: D3E10068 0DA2B92C
	v_mfma_f32_16x16x16_bf16 v[104:107], a[46:47], v[94:95], v[104:107]// 000000003AD0: D3E10068 0DA2BD2E
	v_mfma_f32_16x16x16_bf16 v[108:111], a[48:49], v[80:81], 0 // 000000003AD8: D3E1006C 0A02A130
	buffer_load_dwordx4 a[88:91], v27, s[16:19], 0 offen offset:2048// 000000003AE0: E05C1800 8084581B
	v_mfma_f32_16x16x16_bf16 v[108:111], a[50:51], v[82:83], v[108:111]// 000000003AE8: D3E1006C 0DB2A532
	v_mfma_f32_16x16x16_bf16 v[108:111], a[52:53], v[84:85], v[108:111]// 000000003AF0: D3E1006C 0DB2A934
	v_mfma_f32_16x16x16_bf16 v[108:111], a[54:55], v[86:87], v[108:111]// 000000003AF8: D3E1006C 0DB2AD36
	v_mfma_f32_16x16x16_bf16 v[108:111], a[56:57], v[88:89], v[108:111]// 000000003B00: D3E1006C 0DB2B138
	buffer_load_dwordx4 a[92:95], v27, s[16:19], 0 offen offset:3072// 000000003B08: E05C1C00 80845C1B
	v_mfma_f32_16x16x16_bf16 v[108:111], a[58:59], v[90:91], v[108:111]// 000000003B10: D3E1006C 0DB2B53A
	v_mfma_f32_16x16x16_bf16 v[108:111], a[60:61], v[92:93], v[108:111]// 000000003B18: D3E1006C 0DB2B93C
	v_mfma_f32_16x16x16_bf16 v[108:111], a[62:63], v[94:95], v[108:111]// 000000003B20: D3E1006C 0DB2BD3E
	buffer_load_dwordx4 a[96:99], v28, s[16:19], 0 offen       // 000000003B28: E05C1000 8084601C
	s_nop 8                                                    // 000000003B30: BF800008
	buffer_load_dwordx4 a[100:103], v28, s[16:19], 0 offen offset:1024// 000000003B34: E05C1400 8084641C
	v_mov_b32_e32 v48, v96                                     // 000000003B3C: 7E600360
	v_max3_f32 v48, v96, v97, v48                              // 000000003B40: D1D30030 04C2C360
	v_max3_f32 v48, v98, v99, v48                              // 000000003B48: D1D30030 04C2C762
	v_max3_f32 v48, v100, v101, v48                            // 000000003B50: D1D30030 04C2CB64
	v_max3_f32 v48, v102, v103, v48                            // 000000003B58: D1D30030 04C2CF66
	v_max3_f32 v48, v104, v105, v48                            // 000000003B60: D1D30030 04C2D368
	v_max3_f32 v48, v106, v107, v48                            // 000000003B68: D1D30030 04C2D76A
	v_max3_f32 v48, v108, v109, v48                            // 000000003B70: D1D30030 04C2DB6C
	v_max3_f32 v48, v110, v111, v48                            // 000000003B78: D1D30030 04C2DF6E
	ds_write_b32 v11, v48 offset:4224                          // 000000003B80: D81A1080 0000300B
	buffer_load_dwordx4 a[104:107], v28, s[16:19], 0 offen offset:2048// 000000003B88: E05C1800 8084681C
	s_waitcnt lgkmcnt(0)                                       // 000000003B90: BF8CC07F
	s_barrier                                                  // 000000003B94: BF8A0000
	ds_read_b32 v64, v10 offset:4224                           // 000000003B98: D86C1080 4000000A
	buffer_load_dwordx4 a[108:111], v28, s[16:19], 0 offen offset:3072// 000000003BA0: E05C1C00 80846C1C
	ds_read_b32 v65, v10 offset:4288                           // 000000003BA8: D86C10C0 4100000A
	ds_read_b32 v66, v10 offset:4352                           // 000000003BB0: D86C1100 4200000A
	ds_read_b32 v67, v10 offset:4416                           // 000000003BB8: D86C1140 4300000A
	ds_read_b32 v68, v10 offset:4480                           // 000000003BC0: D86C1180 4400000A
	ds_read_b32 v69, v10 offset:4544                           // 000000003BC8: D86C11C0 4500000A
	ds_read_b32 v70, v10 offset:4608                           // 000000003BD0: D86C1200 4600000A
	ds_read_b32 v71, v10 offset:4672                           // 000000003BD8: D86C1240 4700000A
	ds_read_b32 v72, v10 offset:4736                           // 000000003BE0: D86C1280 4800000A
	buffer_load_dwordx4 a[112:115], v29, s[16:19], 0 offen     // 000000003BE8: E05C1000 8084701D
	ds_read_b32 v73, v10 offset:4800                           // 000000003BF0: D86C12C0 4900000A
	ds_read_b32 v74, v10 offset:4864                           // 000000003BF8: D86C1300 4A00000A
	ds_read_b32 v75, v10 offset:4928                           // 000000003C00: D86C1340 4B00000A
	ds_read_b32 v76, v10 offset:4992                           // 000000003C08: D86C1380 4C00000A
	ds_read_b32 v77, v10 offset:5056                           // 000000003C10: D86C13C0 4D00000A
	ds_read_b32 v78, v10 offset:5120                           // 000000003C18: D86C1400 4E00000A
	ds_read_b32 v79, v10 offset:5184                           // 000000003C20: D86C1440 4F00000A
	buffer_load_dwordx4 a[116:119], v29, s[16:19], 0 offen offset:1024// 000000003C28: E05C1400 8084741D
	buffer_load_dwordx4 a[120:123], v29, s[16:19], 0 offen offset:2048// 000000003C30: E05C1800 8084781D
	s_waitcnt lgkmcnt(0)                                       // 000000003C38: BF8CC07F
	v_max3_f32 v48, v64, v65, v48                              // 000000003C3C: D1D30030 04C28340
	v_max3_f32 v48, v66, v67, v48                              // 000000003C44: D1D30030 04C28742
	v_max3_f32 v48, v68, v69, v48                              // 000000003C4C: D1D30030 04C28B44
	v_max3_f32 v48, v70, v71, v48                              // 000000003C54: D1D30030 04C28F46
	v_max3_f32 v48, v72, v73, v48                              // 000000003C5C: D1D30030 04C29348
	v_max3_f32 v48, v74, v75, v48                              // 000000003C64: D1D30030 04C2974A
	v_max3_f32 v48, v76, v77, v48                              // 000000003C6C: D1D30030 04C29B4C
	v_max3_f32 v48, v78, v79, v48                              // 000000003C74: D1D30030 04C29F4E
	buffer_load_dwordx4 a[124:127], v29, s[16:19], 0 offen offset:3072// 000000003C7C: E05C1C00 80847C1D
	v_cmp_eq_u32_e64 s[40:41], v52, v14                        // 000000003C84: D0CA0028 00021D34
	s_nop 1                                                    // 000000003C8C: BF800001
	v_max_f32_e32 v15, v48, v14                                // 000000003C90: 161E1D30
	v_sub_f32_e32 v49, v14, v15                                // 000000003C94: 04621F0E
	v_cndmask_b32_e64 v49, v49, 0, s[40:41]                    // 000000003C98: D1000031 00A10131
	v_mov_b32_e32 v14, v15                                     // 000000003CA0: 7E1C030F
	v_mul_f32_e32 v50, s64, v15                                // 000000003CA4: 0A641E40
	v_mul_f32_e32 v49, s64, v49                                // 000000003CA8: 0A626240
	v_exp_f32_e32 v49, v49                                     // 000000003CAC: 7E624131
	buffer_load_dwordx4 a[192:195], v144, s[20:23], 0 offen    // 000000003CB0: E05C1000 8085C090
	v_fma_f32 v96, v96, s64, -v50                              // 000000003CB8: D1CB0060 84C88160
	v_fma_f32 v97, v97, s64, -v50                              // 000000003CC0: D1CB0061 84C88161
	v_fma_f32 v98, v98, s64, -v50                              // 000000003CC8: D1CB0062 84C88162
	v_fma_f32 v99, v99, s64, -v50                              // 000000003CD0: D1CB0063 84C88163
	v_fma_f32 v100, v100, s64, -v50                            // 000000003CD8: D1CB0064 84C88164
	v_fma_f32 v101, v101, s64, -v50                            // 000000003CE0: D1CB0065 84C88165
	v_fma_f32 v102, v102, s64, -v50                            // 000000003CE8: D1CB0066 84C88166
	v_fma_f32 v103, v103, s64, -v50                            // 000000003CF0: D1CB0067 84C88167
	v_fma_f32 v104, v104, s64, -v50                            // 000000003CF8: D1CB0068 84C88168
	v_fma_f32 v105, v105, s64, -v50                            // 000000003D00: D1CB0069 84C88169
	v_fma_f32 v106, v106, s64, -v50                            // 000000003D08: D1CB006A 84C8816A
	v_fma_f32 v107, v107, s64, -v50                            // 000000003D10: D1CB006B 84C8816B
	v_fma_f32 v108, v108, s64, -v50                            // 000000003D18: D1CB006C 84C8816C
	v_fma_f32 v109, v109, s64, -v50                            // 000000003D20: D1CB006D 84C8816D
	v_fma_f32 v110, v110, s64, -v50                            // 000000003D28: D1CB006E 84C8816E
	v_fma_f32 v111, v111, s64, -v50                            // 000000003D30: D1CB006F 84C8816F
	v_exp_f32_e32 v96, v96                                     // 000000003D38: 7EC04160
	v_exp_f32_e32 v97, v97                                     // 000000003D3C: 7EC24161
	v_exp_f32_e32 v98, v98                                     // 000000003D40: 7EC44162
	v_exp_f32_e32 v99, v99                                     // 000000003D44: 7EC64163
	v_exp_f32_e32 v100, v100                                   // 000000003D48: 7EC84164
	v_exp_f32_e32 v101, v101                                   // 000000003D4C: 7ECA4165
	v_exp_f32_e32 v102, v102                                   // 000000003D50: 7ECC4166
	v_exp_f32_e32 v103, v103                                   // 000000003D54: 7ECE4167
	v_exp_f32_e32 v104, v104                                   // 000000003D58: 7ED04168
	v_exp_f32_e32 v105, v105                                   // 000000003D5C: 7ED24169
	v_exp_f32_e32 v106, v106                                   // 000000003D60: 7ED4416A
	v_exp_f32_e32 v107, v107                                   // 000000003D64: 7ED6416B
	v_exp_f32_e32 v108, v108                                   // 000000003D68: 7ED8416C
	v_exp_f32_e32 v109, v109                                   // 000000003D6C: 7EDA416D
	v_exp_f32_e32 v110, v110                                   // 000000003D70: 7EDC416E
	v_exp_f32_e32 v111, v111                                   // 000000003D74: 7EDE416F
	buffer_load_dwordx4 a[196:199], v145, s[20:23], 0 offen    // 000000003D78: E05C1000 8085C491
	v_mul_f32_e32 v42, v49, v42                                // 000000003D80: 0A545531
	v_mov_b32_e32 v43, v96                                     // 000000003D84: 7E560360
	v_add_f32_e32 v43, v97, v43                                // 000000003D88: 02565761
	v_add_f32_e32 v43, v98, v43                                // 000000003D8C: 02565762
	v_add_f32_e32 v43, v99, v43                                // 000000003D90: 02565763
	v_add_f32_e32 v43, v100, v43                               // 000000003D94: 02565764
	v_add_f32_e32 v43, v101, v43                               // 000000003D98: 02565765
	v_add_f32_e32 v43, v102, v43                               // 000000003D9C: 02565766
	v_add_f32_e32 v43, v103, v43                               // 000000003DA0: 02565767
	v_add_f32_e32 v43, v104, v43                               // 000000003DA4: 02565768
	v_add_f32_e32 v43, v105, v43                               // 000000003DA8: 02565769
	v_add_f32_e32 v43, v106, v43                               // 000000003DAC: 0256576A
	v_add_f32_e32 v43, v107, v43                               // 000000003DB0: 0256576B
	v_add_f32_e32 v43, v108, v43                               // 000000003DB4: 0256576C
	v_add_f32_e32 v43, v109, v43                               // 000000003DB8: 0256576D
	v_add_f32_e32 v43, v110, v43                               // 000000003DBC: 0256576E
	v_add_f32_e32 v43, v111, v43                               // 000000003DC0: 0256576F
	v_add_f32_e32 v42, v43, v42                                // 000000003DC4: 0254552B
	buffer_load_dwordx4 a[200:203], v146, s[20:23], 0 offen    // 000000003DC8: E05C1000 8085C892
	v_cmp_u_f32_e64 s[40:41], v96, v96                         // 000000003DD0: D0480028 0002C160
	v_add3_u32 v18, v96, v21, 1                                // 000000003DD8: D1FF0012 02062B60
	v_cndmask_b32_e64 v38, v18, v20, s[40:41]                  // 000000003DE0: D1000026 00A22912
	v_cmp_u_f32_e64 s[40:41], v97, v97                         // 000000003DE8: D0480028 0002C361
	v_add3_u32 v18, v97, v21, 1                                // 000000003DF0: D1FF0012 02062B61
	v_cndmask_b32_e64 v39, v18, v20, s[40:41]                  // 000000003DF8: D1000027 00A22912
	v_perm_b32 v96, v39, v38, s52                              // 000000003E00: D1ED0060 00D24D27
	v_cmp_u_f32_e64 s[40:41], v98, v98                         // 000000003E08: D0480028 0002C562
	v_add3_u32 v18, v98, v21, 1                                // 000000003E10: D1FF0012 02062B62
	v_cndmask_b32_e64 v38, v18, v20, s[40:41]                  // 000000003E18: D1000026 00A22912
	v_cmp_u_f32_e64 s[40:41], v99, v99                         // 000000003E20: D0480028 0002C763
	v_add3_u32 v18, v99, v21, 1                                // 000000003E28: D1FF0012 02062B63
	v_cndmask_b32_e64 v39, v18, v20, s[40:41]                  // 000000003E30: D1000027 00A22912
	v_perm_b32 v97, v39, v38, s52                              // 000000003E38: D1ED0061 00D24D27
	v_cmp_u_f32_e64 s[40:41], v100, v100                       // 000000003E40: D0480028 0002C964
	v_add3_u32 v18, v100, v21, 1                               // 000000003E48: D1FF0012 02062B64
	v_cndmask_b32_e64 v38, v18, v20, s[40:41]                  // 000000003E50: D1000026 00A22912
	v_cmp_u_f32_e64 s[40:41], v101, v101                       // 000000003E58: D0480028 0002CB65
	v_add3_u32 v18, v101, v21, 1                               // 000000003E60: D1FF0012 02062B65
	v_cndmask_b32_e64 v39, v18, v20, s[40:41]                  // 000000003E68: D1000027 00A22912
	v_perm_b32 v98, v39, v38, s52                              // 000000003E70: D1ED0062 00D24D27
	v_cmp_u_f32_e64 s[40:41], v102, v102                       // 000000003E78: D0480028 0002CD66
	v_add3_u32 v18, v102, v21, 1                               // 000000003E80: D1FF0012 02062B66
	v_cndmask_b32_e64 v38, v18, v20, s[40:41]                  // 000000003E88: D1000026 00A22912
	v_cmp_u_f32_e64 s[40:41], v103, v103                       // 000000003E90: D0480028 0002CF67
	v_add3_u32 v18, v103, v21, 1                               // 000000003E98: D1FF0012 02062B67
	v_cndmask_b32_e64 v39, v18, v20, s[40:41]                  // 000000003EA0: D1000027 00A22912
	v_perm_b32 v99, v39, v38, s52                              // 000000003EA8: D1ED0063 00D24D27
	v_cmp_u_f32_e64 s[40:41], v104, v104                       // 000000003EB0: D0480028 0002D168
	v_add3_u32 v18, v104, v21, 1                               // 000000003EB8: D1FF0012 02062B68
	v_cndmask_b32_e64 v38, v18, v20, s[40:41]                  // 000000003EC0: D1000026 00A22912
	v_cmp_u_f32_e64 s[40:41], v105, v105                       // 000000003EC8: D0480028 0002D369
	v_add3_u32 v18, v105, v21, 1                               // 000000003ED0: D1FF0012 02062B69
	v_cndmask_b32_e64 v39, v18, v20, s[40:41]                  // 000000003ED8: D1000027 00A22912
	v_perm_b32 v100, v39, v38, s52                             // 000000003EE0: D1ED0064 00D24D27
	v_cmp_u_f32_e64 s[40:41], v106, v106                       // 000000003EE8: D0480028 0002D56A
	v_add3_u32 v18, v106, v21, 1                               // 000000003EF0: D1FF0012 02062B6A
	v_cndmask_b32_e64 v38, v18, v20, s[40:41]                  // 000000003EF8: D1000026 00A22912
	v_cmp_u_f32_e64 s[40:41], v107, v107                       // 000000003F00: D0480028 0002D76B
	v_add3_u32 v18, v107, v21, 1                               // 000000003F08: D1FF0012 02062B6B
	v_cndmask_b32_e64 v39, v18, v20, s[40:41]                  // 000000003F10: D1000027 00A22912
	v_perm_b32 v101, v39, v38, s52                             // 000000003F18: D1ED0065 00D24D27
	v_cmp_u_f32_e64 s[40:41], v108, v108                       // 000000003F20: D0480028 0002D96C
	v_add3_u32 v18, v108, v21, 1                               // 000000003F28: D1FF0012 02062B6C
	v_cndmask_b32_e64 v38, v18, v20, s[40:41]                  // 000000003F30: D1000026 00A22912
	v_cmp_u_f32_e64 s[40:41], v109, v109                       // 000000003F38: D0480028 0002DB6D
	v_add3_u32 v18, v109, v21, 1                               // 000000003F40: D1FF0012 02062B6D
	v_cndmask_b32_e64 v39, v18, v20, s[40:41]                  // 000000003F48: D1000027 00A22912
	v_perm_b32 v102, v39, v38, s52                             // 000000003F50: D1ED0066 00D24D27
	v_cmp_u_f32_e64 s[40:41], v110, v110                       // 000000003F58: D0480028 0002DD6E
	v_add3_u32 v18, v110, v21, 1                               // 000000003F60: D1FF0012 02062B6E
	v_cndmask_b32_e64 v38, v18, v20, s[40:41]                  // 000000003F68: D1000026 00A22912
	v_cmp_u_f32_e64 s[40:41], v111, v111                       // 000000003F70: D0480028 0002DF6F
	v_add3_u32 v18, v111, v21, 1                               // 000000003F78: D1FF0012 02062B6F
	v_cndmask_b32_e64 v39, v18, v20, s[40:41]                  // 000000003F80: D1000027 00A22912
	v_perm_b32 v103, v39, v38, s52                             // 000000003F88: D1ED0067 00D24D27
	buffer_load_dwordx4 a[204:207], v147, s[20:23], 0 offen    // 000000003F90: E05C1000 8085CC93
	buffer_load_dwordx4 a[208:211], v148, s[20:23], 0 offen    // 000000003F98: E05C1000 8085D094
	ds_write_b64 v13, v[96:97] offset:5248                     // 000000003FA0: D89A1480 0000600D
	ds_write_b64 v13, v[98:99] offset:7296                     // 000000003FA8: D89A1C80 0000620D
	ds_write_b64 v13, v[100:101] offset:9344                   // 000000003FB0: D89A2480 0000640D
	ds_write_b64 v13, v[102:103] offset:11392                  // 000000003FB8: D89A2C80 0000660D
	buffer_load_dwordx4 a[212:215], v149, s[20:23], 0 offen    // 000000003FC0: E05C1000 8085D495
	s_waitcnt lgkmcnt(0)                                       // 000000003FC8: BF8CC07F
	s_barrier                                                  // 000000003FCC: BF8A0000
	ds_read_b64 v[96:97], v12 offset:5248                      // 000000003FD0: D8EC1480 6000000C
	ds_read_b64 v[98:99], v12 offset:5376                      // 000000003FD8: D8EC1500 6200000C
	ds_read_b64 v[100:101], v12 offset:6272                    // 000000003FE0: D8EC1880 6400000C
	ds_read_b64 v[102:103], v12 offset:6400                    // 000000003FE8: D8EC1900 6600000C
	ds_read_b64 v[104:105], v12 offset:7296                    // 000000003FF0: D8EC1C80 6800000C
	ds_read_b64 v[106:107], v12 offset:7424                    // 000000003FF8: D8EC1D00 6A00000C
	ds_read_b64 v[108:109], v12 offset:8320                    // 000000004000: D8EC2080 6C00000C
	ds_read_b64 v[110:111], v12 offset:8448                    // 000000004008: D8EC2100 6E00000C
	ds_read_b64 v[112:113], v12 offset:9344                    // 000000004010: D8EC2480 7000000C
	ds_read_b64 v[114:115], v12 offset:9472                    // 000000004018: D8EC2500 7200000C
	ds_read_b64 v[116:117], v12 offset:10368                   // 000000004020: D8EC2880 7400000C
	ds_read_b64 v[118:119], v12 offset:10496                   // 000000004028: D8EC2900 7600000C
	ds_read_b64 v[120:121], v12 offset:11392                   // 000000004030: D8EC2C80 7800000C
	ds_read_b64 v[122:123], v12 offset:11520                   // 000000004038: D8EC2D00 7A00000C
	ds_read_b64 v[124:125], v12 offset:12416                   // 000000004040: D8EC3080 7C00000C
	ds_read_b64 v[126:127], v12 offset:12544                   // 000000004048: D8EC3100 7E00000C
	buffer_load_dwordx4 a[216:219], v150, s[20:23], 0 offen    // 000000004050: E05C1000 8085D896
	buffer_load_dwordx4 a[220:223], v151, s[20:23], 0 offen    // 000000004058: E05C1000 8085DC97
	s_waitcnt lgkmcnt(0)                                       // 000000004060: BF8CC07F
	v_mul_f32_e32 v128, v49, v128                              // 000000004064: 0B010131
	v_mul_f32_e32 v129, v49, v129                              // 000000004068: 0B030331
	v_mul_f32_e32 v130, v49, v130                              // 00000000406C: 0B050531
	v_mul_f32_e32 v131, v49, v131                              // 000000004070: 0B070731
	v_mul_f32_e32 v132, v49, v132                              // 000000004074: 0B090931
	v_mul_f32_e32 v133, v49, v133                              // 000000004078: 0B0B0B31
	v_mul_f32_e32 v134, v49, v134                              // 00000000407C: 0B0D0D31
	v_mul_f32_e32 v135, v49, v135                              // 000000004080: 0B0F0F31
	s_waitcnt vmcnt(24)                                        // 000000004084: BF8C4F78
	v_mfma_f32_16x16x16_bf16 v[128:131], a[128:129], v[96:97], v[128:131]// 000000004088: D3E10080 0E02C180
	buffer_load_dwordx4 a[224:227], v144, s[20:23], 0 offen offset:1024// 000000004090: E05C1400 8085E090
	v_mfma_f32_16x16x16_bf16 v[128:131], a[130:131], v[98:99], v[128:131]// 000000004098: D3E10080 0E02C582
	v_mfma_f32_16x16x16_bf16 v[128:131], a[132:133], v[100:101], v[128:131]// 0000000040A0: D3E10080 0E02C984
	v_mfma_f32_16x16x16_bf16 v[128:131], a[134:135], v[102:103], v[128:131]// 0000000040A8: D3E10080 0E02CD86
	v_mfma_f32_16x16x16_bf16 v[128:131], a[136:137], v[104:105], v[128:131]// 0000000040B0: D3E10080 0E02D188
	buffer_load_dwordx4 a[228:231], v145, s[20:23], 0 offen offset:1024// 0000000040B8: E05C1400 8085E491
	v_mfma_f32_16x16x16_bf16 v[128:131], a[138:139], v[106:107], v[128:131]// 0000000040C0: D3E10080 0E02D58A
	v_mfma_f32_16x16x16_bf16 v[128:131], a[140:141], v[108:109], v[128:131]// 0000000040C8: D3E10080 0E02D98C
	v_mfma_f32_16x16x16_bf16 v[128:131], a[142:143], v[110:111], v[128:131]// 0000000040D0: D3E10080 0E02DD8E
	v_mfma_f32_16x16x16_bf16 v[128:131], a[144:145], v[112:113], v[128:131]// 0000000040D8: D3E10080 0E02E190
	buffer_load_dwordx4 a[232:235], v146, s[20:23], 0 offen offset:1024// 0000000040E0: E05C1400 8085E892
	v_mfma_f32_16x16x16_bf16 v[128:131], a[146:147], v[114:115], v[128:131]// 0000000040E8: D3E10080 0E02E592
	v_mfma_f32_16x16x16_bf16 v[128:131], a[148:149], v[116:117], v[128:131]// 0000000040F0: D3E10080 0E02E994
	v_mfma_f32_16x16x16_bf16 v[128:131], a[150:151], v[118:119], v[128:131]// 0000000040F8: D3E10080 0E02ED96
	v_mfma_f32_16x16x16_bf16 v[128:131], a[152:153], v[120:121], v[128:131]// 000000004100: D3E10080 0E02F198
	buffer_load_dwordx4 a[236:239], v147, s[20:23], 0 offen offset:1024// 000000004108: E05C1400 8085EC93
	v_mfma_f32_16x16x16_bf16 v[128:131], a[154:155], v[122:123], v[128:131]// 000000004110: D3E10080 0E02F59A
	v_mfma_f32_16x16x16_bf16 v[128:131], a[156:157], v[124:125], v[128:131]// 000000004118: D3E10080 0E02F99C
	v_mfma_f32_16x16x16_bf16 v[128:131], a[158:159], v[126:127], v[128:131]// 000000004120: D3E10080 0E02FD9E
	v_mfma_f32_16x16x16_bf16 v[132:135], a[160:161], v[96:97], v[132:135]// 000000004128: D3E10084 0E12C1A0
	buffer_load_dwordx4 a[240:243], v148, s[20:23], 0 offen offset:1024// 000000004130: E05C1400 8085F094
	v_mfma_f32_16x16x16_bf16 v[132:135], a[162:163], v[98:99], v[132:135]// 000000004138: D3E10084 0E12C5A2
	v_mfma_f32_16x16x16_bf16 v[132:135], a[164:165], v[100:101], v[132:135]// 000000004140: D3E10084 0E12C9A4
	v_mfma_f32_16x16x16_bf16 v[132:135], a[166:167], v[102:103], v[132:135]// 000000004148: D3E10084 0E12CDA6
	v_mfma_f32_16x16x16_bf16 v[132:135], a[168:169], v[104:105], v[132:135]// 000000004150: D3E10084 0E12D1A8
	buffer_load_dwordx4 a[244:247], v149, s[20:23], 0 offen offset:1024// 000000004158: E05C1400 8085F495
	v_mfma_f32_16x16x16_bf16 v[132:135], a[170:171], v[106:107], v[132:135]// 000000004160: D3E10084 0E12D5AA
	v_mfma_f32_16x16x16_bf16 v[132:135], a[172:173], v[108:109], v[132:135]// 000000004168: D3E10084 0E12D9AC
	v_mfma_f32_16x16x16_bf16 v[132:135], a[174:175], v[110:111], v[132:135]// 000000004170: D3E10084 0E12DDAE
	v_mfma_f32_16x16x16_bf16 v[132:135], a[176:177], v[112:113], v[132:135]// 000000004178: D3E10084 0E12E1B0
	buffer_load_dwordx4 a[248:251], v150, s[20:23], 0 offen offset:1024// 000000004180: E05C1400 8085F896
	v_mfma_f32_16x16x16_bf16 v[132:135], a[178:179], v[114:115], v[132:135]// 000000004188: D3E10084 0E12E5B2
	v_mfma_f32_16x16x16_bf16 v[132:135], a[180:181], v[116:117], v[132:135]// 000000004190: D3E10084 0E12E9B4
	v_mfma_f32_16x16x16_bf16 v[132:135], a[182:183], v[118:119], v[132:135]// 000000004198: D3E10084 0E12EDB6
	v_mfma_f32_16x16x16_bf16 v[132:135], a[184:185], v[120:121], v[132:135]// 0000000041A0: D3E10084 0E12F1B8
	buffer_load_dwordx4 a[252:255], v151, s[20:23], 0 offen offset:1024// 0000000041A8: E05C1400 8085FC97
	v_mfma_f32_16x16x16_bf16 v[132:135], a[186:187], v[122:123], v[132:135]// 0000000041B0: D3E10084 0E12F5BA
	v_mfma_f32_16x16x16_bf16 v[132:135], a[188:189], v[124:125], v[132:135]// 0000000041B8: D3E10084 0E12F9BC
	v_mfma_f32_16x16x16_bf16 v[132:135], a[190:191], v[126:127], v[132:135]// 0000000041C0: D3E10084 0E12FDBE
	s_lshr_b32 s60, s70, 4                                     // 0000000041C8: 8F3C8446
	s_add_u32 s60, 48, s60                                     // 0000000041CC: 803C3CB0
	s_cmp_ge_u32 s60, s73                                      // 0000000041D0: BF09493C
	s_cselect_b32 s56, 0, s56                                  // 0000000041D4: 85383880
	v_mul_u32_u24_dpp v38, v16, v51 row_newbcast:0 row_mask:0xf bank_mask:0xf// 0000000041D8: 104C66FA FF015010
	v_mul_u32_u24_dpp v39, v16, v51 row_newbcast:4 row_mask:0xf bank_mask:0xf// 0000000041E0: 104E66FA FF015410
	v_mul_u32_u24_dpp v40, v16, v51 row_newbcast:8 row_mask:0xf bank_mask:0xf// 0000000041E8: 105066FA FF015810
	v_mul_u32_u24_dpp v41, v16, v51 row_newbcast:12 row_mask:0xf bank_mask:0xf// 0000000041F0: 105266FA FF015C10
	v_add_u32_e32 v22, v38, v6                                 // 0000000041F8: 682C0D26
	v_add_u32_e32 v23, v39, v6                                 // 0000000041FC: 682E0D27
	v_add_u32_e32 v24, v40, v6                                 // 000000004200: 68300D28
	v_add_u32_e32 v25, v41, v6                                 // 000000004204: 68320D29
	v_mul_u32_u24_dpp v38, v16, v51 row_newbcast:1 row_mask:0xf bank_mask:0xf// 000000004208: 104C66FA FF015110
	v_mul_u32_u24_dpp v39, v16, v51 row_newbcast:2 row_mask:0xf bank_mask:0xf// 000000004210: 104E66FA FF015210
	v_mul_u32_u24_dpp v40, v16, v51 row_newbcast:5 row_mask:0xf bank_mask:0xf// 000000004218: 105066FA FF015510
	v_mul_u32_u24_dpp v41, v16, v51 row_newbcast:6 row_mask:0xf bank_mask:0xf// 000000004220: 105266FA FF015610
	v_add_u32_e32 v136, v38, v7                                // 000000004228: 69100F26
	v_add_u32_e32 v137, v39, v7                                // 00000000422C: 69120F27
	v_add_u32_e32 v138, v40, v7                                // 000000004230: 69140F28
	v_add_u32_e32 v139, v41, v7                                // 000000004234: 69160F29
	v_mul_u32_u24_dpp v38, v16, v51 row_newbcast:9 row_mask:0xf bank_mask:0xf// 000000004238: 104C66FA FF015910
	v_mul_u32_u24_dpp v39, v16, v51 row_newbcast:10 row_mask:0xf bank_mask:0xf// 000000004240: 104E66FA FF015A10
	v_mul_u32_u24_dpp v40, v16, v51 row_newbcast:13 row_mask:0xf bank_mask:0xf// 000000004248: 105066FA FF015D10
	v_mul_u32_u24_dpp v41, v16, v51 row_newbcast:7 row_mask:0xf bank_mask:0xf// 000000004250: 105266FA FF015710
	v_add_u32_e32 v140, v38, v7                                // 000000004258: 69180F26
	v_add_u32_e32 v141, v39, v7                                // 00000000425C: 691A0F27
	v_add_u32_e32 v142, v40, v7                                // 000000004260: 691C0F28
	v_add_u32_e32 v143, v41, v7                                // 000000004264: 691E0F29
	v_add_u32_e32 v1, s56, v1                                  // 000000004268: 68020238
	s_addk_i32 s70, 0x100                                      // 00000000426C: B7460100
	s_cmp_lt_i32 s70, s71                                      // 000000004270: BF044746
	s_cbranch_scc0 label_05F4                                  // 000000004274: BF84FDD6
	s_waitcnt vmcnt(16) lgkmcnt(0)                             // 000000004278: BF8C4070
	v_mfma_f32_16x16x16_bf16 v[96:99], a[64:65], v[80:81], 0   // 00000000427C: D3E10060 0A02A140
	buffer_load_dwordx4 a[0:3], v22, s[16:19], 0 offen         // 000000004284: E05C1000 80840016
	v_mfma_f32_16x16x16_bf16 v[96:99], a[66:67], v[82:83], v[96:99]// 00000000428C: D3E10060 0D82A542
	v_mfma_f32_16x16x16_bf16 v[96:99], a[68:69], v[84:85], v[96:99]// 000000004294: D3E10060 0D82A944
	buffer_load_dword v17, v1, s[24:27], 0 offen               // 00000000429C: E0501000 80061101
	v_mfma_f32_16x16x16_bf16 v[96:99], a[70:71], v[86:87], v[96:99]// 0000000042A4: D3E10060 0D82AD46
	v_mfma_f32_16x16x16_bf16 v[96:99], a[72:73], v[88:89], v[96:99]// 0000000042AC: D3E10060 0D82B148
	buffer_load_dwordx4 a[4:7], v22, s[16:19], 0 offen offset:1024// 0000000042B4: E05C1400 80840416
	v_mfma_f32_16x16x16_bf16 v[96:99], a[74:75], v[90:91], v[96:99]// 0000000042BC: D3E10060 0D82B54A
	v_mfma_f32_16x16x16_bf16 v[96:99], a[76:77], v[92:93], v[96:99]// 0000000042C4: D3E10060 0D82B94C
	v_mfma_f32_16x16x16_bf16 v[96:99], a[78:79], v[94:95], v[96:99]// 0000000042CC: D3E10060 0D82BD4E
	v_mfma_f32_16x16x16_bf16 v[100:103], a[80:81], v[80:81], 0 // 0000000042D4: D3E10064 0A02A150
	buffer_load_dwordx4 a[8:11], v22, s[16:19], 0 offen offset:2048// 0000000042DC: E05C1800 80840816
	v_mfma_f32_16x16x16_bf16 v[100:103], a[82:83], v[82:83], v[100:103]// 0000000042E4: D3E10064 0D92A552
	v_mfma_f32_16x16x16_bf16 v[100:103], a[84:85], v[84:85], v[100:103]// 0000000042EC: D3E10064 0D92A954
	v_mfma_f32_16x16x16_bf16 v[100:103], a[86:87], v[86:87], v[100:103]// 0000000042F4: D3E10064 0D92AD56
	v_mfma_f32_16x16x16_bf16 v[100:103], a[88:89], v[88:89], v[100:103]// 0000000042FC: D3E10064 0D92B158
	buffer_load_dwordx4 a[12:15], v22, s[16:19], 0 offen offset:3072// 000000004304: E05C1C00 80840C16
	v_mfma_f32_16x16x16_bf16 v[100:103], a[90:91], v[90:91], v[100:103]// 00000000430C: D3E10064 0D92B55A
	v_mfma_f32_16x16x16_bf16 v[100:103], a[92:93], v[92:93], v[100:103]// 000000004314: D3E10064 0D92B95C
	v_mfma_f32_16x16x16_bf16 v[100:103], a[94:95], v[94:95], v[100:103]// 00000000431C: D3E10064 0D92BD5E
	v_mfma_f32_16x16x16_bf16 v[104:107], a[96:97], v[80:81], 0 // 000000004324: D3E10068 0A02A160
	buffer_load_dwordx4 a[16:19], v23, s[16:19], 0 offen       // 00000000432C: E05C1000 80841017
	v_mfma_f32_16x16x16_bf16 v[104:107], a[98:99], v[82:83], v[104:107]// 000000004334: D3E10068 0DA2A562
	v_mfma_f32_16x16x16_bf16 v[104:107], a[100:101], v[84:85], v[104:107]// 00000000433C: D3E10068 0DA2A964
	v_mfma_f32_16x16x16_bf16 v[104:107], a[102:103], v[86:87], v[104:107]// 000000004344: D3E10068 0DA2AD66
	v_mfma_f32_16x16x16_bf16 v[104:107], a[104:105], v[88:89], v[104:107]// 00000000434C: D3E10068 0DA2B168
	buffer_load_dwordx4 a[20:23], v23, s[16:19], 0 offen offset:1024// 000000004354: E05C1400 80841417
	v_mfma_f32_16x16x16_bf16 v[104:107], a[106:107], v[90:91], v[104:107]// 00000000435C: D3E10068 0DA2B56A
	v_mfma_f32_16x16x16_bf16 v[104:107], a[108:109], v[92:93], v[104:107]// 000000004364: D3E10068 0DA2B96C
	v_mfma_f32_16x16x16_bf16 v[104:107], a[110:111], v[94:95], v[104:107]// 00000000436C: D3E10068 0DA2BD6E
	v_mfma_f32_16x16x16_bf16 v[108:111], a[112:113], v[80:81], 0// 000000004374: D3E1006C 0A02A170
	buffer_load_dwordx4 a[24:27], v23, s[16:19], 0 offen offset:2048// 00000000437C: E05C1800 80841817
	v_mfma_f32_16x16x16_bf16 v[108:111], a[114:115], v[82:83], v[108:111]// 000000004384: D3E1006C 0DB2A572
	v_mfma_f32_16x16x16_bf16 v[108:111], a[116:117], v[84:85], v[108:111]// 00000000438C: D3E1006C 0DB2A974
	v_mfma_f32_16x16x16_bf16 v[108:111], a[118:119], v[86:87], v[108:111]// 000000004394: D3E1006C 0DB2AD76
	v_mfma_f32_16x16x16_bf16 v[108:111], a[120:121], v[88:89], v[108:111]// 00000000439C: D3E1006C 0DB2B178
	buffer_load_dwordx4 a[28:31], v23, s[16:19], 0 offen offset:3072// 0000000043A4: E05C1C00 80841C17
	v_mfma_f32_16x16x16_bf16 v[108:111], a[122:123], v[90:91], v[108:111]// 0000000043AC: D3E1006C 0DB2B57A
	v_mfma_f32_16x16x16_bf16 v[108:111], a[124:125], v[92:93], v[108:111]// 0000000043B4: D3E1006C 0DB2B97C
	v_mfma_f32_16x16x16_bf16 v[108:111], a[126:127], v[94:95], v[108:111]// 0000000043BC: D3E1006C 0DB2BD7E
	buffer_load_dwordx4 a[32:35], v24, s[16:19], 0 offen       // 0000000043C4: E05C1000 80842018
	s_nop 8                                                    // 0000000043CC: BF800008
	buffer_load_dwordx4 a[36:39], v24, s[16:19], 0 offen offset:1024// 0000000043D0: E05C1400 80842418
	v_mov_b32_e32 v48, v96                                     // 0000000043D8: 7E600360
	v_max3_f32 v48, v96, v97, v48                              // 0000000043DC: D1D30030 04C2C360
	v_max3_f32 v48, v98, v99, v48                              // 0000000043E4: D1D30030 04C2C762
	v_max3_f32 v48, v100, v101, v48                            // 0000000043EC: D1D30030 04C2CB64
	v_max3_f32 v48, v102, v103, v48                            // 0000000043F4: D1D30030 04C2CF66
	v_max3_f32 v48, v104, v105, v48                            // 0000000043FC: D1D30030 04C2D368
	v_max3_f32 v48, v106, v107, v48                            // 000000004404: D1D30030 04C2D76A
	v_max3_f32 v48, v108, v109, v48                            // 00000000440C: D1D30030 04C2DB6C
	v_max3_f32 v48, v110, v111, v48                            // 000000004414: D1D30030 04C2DF6E
	ds_write_b32 v11, v48 offset:4224                          // 00000000441C: D81A1080 0000300B
	buffer_load_dwordx4 a[40:43], v24, s[16:19], 0 offen offset:2048// 000000004424: E05C1800 80842818
	s_waitcnt lgkmcnt(0)                                       // 00000000442C: BF8CC07F
	s_barrier                                                  // 000000004430: BF8A0000
	ds_read_b32 v64, v10 offset:4224                           // 000000004434: D86C1080 4000000A
	buffer_load_dwordx4 a[44:47], v24, s[16:19], 0 offen offset:3072// 00000000443C: E05C1C00 80842C18
	ds_read_b32 v65, v10 offset:4288                           // 000000004444: D86C10C0 4100000A
	ds_read_b32 v66, v10 offset:4352                           // 00000000444C: D86C1100 4200000A
	ds_read_b32 v67, v10 offset:4416                           // 000000004454: D86C1140 4300000A
	ds_read_b32 v68, v10 offset:4480                           // 00000000445C: D86C1180 4400000A
	ds_read_b32 v69, v10 offset:4544                           // 000000004464: D86C11C0 4500000A
	ds_read_b32 v70, v10 offset:4608                           // 00000000446C: D86C1200 4600000A
	ds_read_b32 v71, v10 offset:4672                           // 000000004474: D86C1240 4700000A
	ds_read_b32 v72, v10 offset:4736                           // 00000000447C: D86C1280 4800000A
	buffer_load_dwordx4 a[48:51], v25, s[16:19], 0 offen       // 000000004484: E05C1000 80843019
	ds_read_b32 v73, v10 offset:4800                           // 00000000448C: D86C12C0 4900000A
	ds_read_b32 v74, v10 offset:4864                           // 000000004494: D86C1300 4A00000A
	ds_read_b32 v75, v10 offset:4928                           // 00000000449C: D86C1340 4B00000A
	ds_read_b32 v76, v10 offset:4992                           // 0000000044A4: D86C1380 4C00000A
	ds_read_b32 v77, v10 offset:5056                           // 0000000044AC: D86C13C0 4D00000A
	ds_read_b32 v78, v10 offset:5120                           // 0000000044B4: D86C1400 4E00000A
	ds_read_b32 v79, v10 offset:5184                           // 0000000044BC: D86C1440 4F00000A
	buffer_load_dwordx4 a[52:55], v25, s[16:19], 0 offen offset:1024// 0000000044C4: E05C1400 80843419
	buffer_load_dwordx4 a[56:59], v25, s[16:19], 0 offen offset:2048// 0000000044CC: E05C1800 80843819
	s_waitcnt lgkmcnt(0)                                       // 0000000044D4: BF8CC07F
	v_max3_f32 v48, v64, v65, v48                              // 0000000044D8: D1D30030 04C28340
	v_max3_f32 v48, v66, v67, v48                              // 0000000044E0: D1D30030 04C28742
	v_max3_f32 v48, v68, v69, v48                              // 0000000044E8: D1D30030 04C28B44
	v_max3_f32 v48, v70, v71, v48                              // 0000000044F0: D1D30030 04C28F46
	v_max3_f32 v48, v72, v73, v48                              // 0000000044F8: D1D30030 04C29348
	v_max3_f32 v48, v74, v75, v48                              // 000000004500: D1D30030 04C2974A
	v_max3_f32 v48, v76, v77, v48                              // 000000004508: D1D30030 04C29B4C
	v_max3_f32 v48, v78, v79, v48                              // 000000004510: D1D30030 04C29F4E
	buffer_load_dwordx4 a[60:63], v25, s[16:19], 0 offen offset:3072// 000000004518: E05C1C00 80843C19
	v_cmp_eq_u32_e64 s[40:41], v52, v14                        // 000000004520: D0CA0028 00021D34
	s_nop 1                                                    // 000000004528: BF800001
	v_max_f32_e32 v15, v48, v14                                // 00000000452C: 161E1D30
	v_sub_f32_e32 v49, v14, v15                                // 000000004530: 04621F0E
	v_cndmask_b32_e64 v49, v49, 0, s[40:41]                    // 000000004534: D1000031 00A10131
	v_mov_b32_e32 v14, v15                                     // 00000000453C: 7E1C030F
	v_mul_f32_e32 v50, s64, v15                                // 000000004540: 0A641E40
	v_mul_f32_e32 v49, s64, v49                                // 000000004544: 0A626240
	v_exp_f32_e32 v49, v49                                     // 000000004548: 7E624131
	buffer_load_dwordx4 a[128:131], v136, s[20:23], 0 offen    // 00000000454C: E05C1000 80858088
	v_fma_f32 v96, v96, s64, -v50                              // 000000004554: D1CB0060 84C88160
	v_fma_f32 v97, v97, s64, -v50                              // 00000000455C: D1CB0061 84C88161
	v_fma_f32 v98, v98, s64, -v50                              // 000000004564: D1CB0062 84C88162
	v_fma_f32 v99, v99, s64, -v50                              // 00000000456C: D1CB0063 84C88163
	v_fma_f32 v100, v100, s64, -v50                            // 000000004574: D1CB0064 84C88164
	v_fma_f32 v101, v101, s64, -v50                            // 00000000457C: D1CB0065 84C88165
	v_fma_f32 v102, v102, s64, -v50                            // 000000004584: D1CB0066 84C88166
	v_fma_f32 v103, v103, s64, -v50                            // 00000000458C: D1CB0067 84C88167
	v_fma_f32 v104, v104, s64, -v50                            // 000000004594: D1CB0068 84C88168
	v_fma_f32 v105, v105, s64, -v50                            // 00000000459C: D1CB0069 84C88169
	v_fma_f32 v106, v106, s64, -v50                            // 0000000045A4: D1CB006A 84C8816A
	v_fma_f32 v107, v107, s64, -v50                            // 0000000045AC: D1CB006B 84C8816B
	v_fma_f32 v108, v108, s64, -v50                            // 0000000045B4: D1CB006C 84C8816C
	v_fma_f32 v109, v109, s64, -v50                            // 0000000045BC: D1CB006D 84C8816D
	v_fma_f32 v110, v110, s64, -v50                            // 0000000045C4: D1CB006E 84C8816E
	v_fma_f32 v111, v111, s64, -v50                            // 0000000045CC: D1CB006F 84C8816F
	v_exp_f32_e32 v96, v96                                     // 0000000045D4: 7EC04160
	v_exp_f32_e32 v97, v97                                     // 0000000045D8: 7EC24161
	v_exp_f32_e32 v98, v98                                     // 0000000045DC: 7EC44162
	v_exp_f32_e32 v99, v99                                     // 0000000045E0: 7EC64163
	v_exp_f32_e32 v100, v100                                   // 0000000045E4: 7EC84164
	v_exp_f32_e32 v101, v101                                   // 0000000045E8: 7ECA4165
	v_exp_f32_e32 v102, v102                                   // 0000000045EC: 7ECC4166
	v_exp_f32_e32 v103, v103                                   // 0000000045F0: 7ECE4167
	v_exp_f32_e32 v104, v104                                   // 0000000045F4: 7ED04168
	v_exp_f32_e32 v105, v105                                   // 0000000045F8: 7ED24169
	v_exp_f32_e32 v106, v106                                   // 0000000045FC: 7ED4416A
	v_exp_f32_e32 v107, v107                                   // 000000004600: 7ED6416B
	v_exp_f32_e32 v108, v108                                   // 000000004604: 7ED8416C
	v_exp_f32_e32 v109, v109                                   // 000000004608: 7EDA416D
	v_exp_f32_e32 v110, v110                                   // 00000000460C: 7EDC416E
	v_exp_f32_e32 v111, v111                                   // 000000004610: 7EDE416F
	buffer_load_dwordx4 a[132:135], v137, s[20:23], 0 offen    // 000000004614: E05C1000 80858489
	v_mul_f32_e32 v42, v49, v42                                // 00000000461C: 0A545531
	v_mov_b32_e32 v43, v96                                     // 000000004620: 7E560360
	v_add_f32_e32 v43, v97, v43                                // 000000004624: 02565761
	v_add_f32_e32 v43, v98, v43                                // 000000004628: 02565762
	v_add_f32_e32 v43, v99, v43                                // 00000000462C: 02565763
	v_add_f32_e32 v43, v100, v43                               // 000000004630: 02565764
	v_add_f32_e32 v43, v101, v43                               // 000000004634: 02565765
	;; [unrolled: 1-line block ×3, first 2 shown]
	v_add_f32_e32 v43, v103, v43                               // 00000000463C: 02565767
	v_add_f32_e32 v43, v104, v43                               // 000000004640: 02565768
	v_add_f32_e32 v43, v105, v43                               // 000000004644: 02565769
	v_add_f32_e32 v43, v106, v43                               // 000000004648: 0256576A
	v_add_f32_e32 v43, v107, v43                               // 00000000464C: 0256576B
	v_add_f32_e32 v43, v108, v43                               // 000000004650: 0256576C
	v_add_f32_e32 v43, v109, v43                               // 000000004654: 0256576D
	v_add_f32_e32 v43, v110, v43                               // 000000004658: 0256576E
	v_add_f32_e32 v43, v111, v43                               // 00000000465C: 0256576F
	v_add_f32_e32 v42, v43, v42                                // 000000004660: 0254552B
	buffer_load_dwordx4 a[136:139], v138, s[20:23], 0 offen    // 000000004664: E05C1000 8085888A
	v_cmp_u_f32_e64 s[40:41], v96, v96                         // 00000000466C: D0480028 0002C160
	v_add3_u32 v18, v96, v21, 1                                // 000000004674: D1FF0012 02062B60
	v_cndmask_b32_e64 v38, v18, v20, s[40:41]                  // 00000000467C: D1000026 00A22912
	v_cmp_u_f32_e64 s[40:41], v97, v97                         // 000000004684: D0480028 0002C361
	v_add3_u32 v18, v97, v21, 1                                // 00000000468C: D1FF0012 02062B61
	v_cndmask_b32_e64 v39, v18, v20, s[40:41]                  // 000000004694: D1000027 00A22912
	v_perm_b32 v96, v39, v38, s52                              // 00000000469C: D1ED0060 00D24D27
	v_cmp_u_f32_e64 s[40:41], v98, v98                         // 0000000046A4: D0480028 0002C562
	v_add3_u32 v18, v98, v21, 1                                // 0000000046AC: D1FF0012 02062B62
	v_cndmask_b32_e64 v38, v18, v20, s[40:41]                  // 0000000046B4: D1000026 00A22912
	v_cmp_u_f32_e64 s[40:41], v99, v99                         // 0000000046BC: D0480028 0002C763
	v_add3_u32 v18, v99, v21, 1                                // 0000000046C4: D1FF0012 02062B63
	v_cndmask_b32_e64 v39, v18, v20, s[40:41]                  // 0000000046CC: D1000027 00A22912
	v_perm_b32 v97, v39, v38, s52                              // 0000000046D4: D1ED0061 00D24D27
	v_cmp_u_f32_e64 s[40:41], v100, v100                       // 0000000046DC: D0480028 0002C964
	v_add3_u32 v18, v100, v21, 1                               // 0000000046E4: D1FF0012 02062B64
	v_cndmask_b32_e64 v38, v18, v20, s[40:41]                  // 0000000046EC: D1000026 00A22912
	v_cmp_u_f32_e64 s[40:41], v101, v101                       // 0000000046F4: D0480028 0002CB65
	v_add3_u32 v18, v101, v21, 1                               // 0000000046FC: D1FF0012 02062B65
	v_cndmask_b32_e64 v39, v18, v20, s[40:41]                  // 000000004704: D1000027 00A22912
	v_perm_b32 v98, v39, v38, s52                              // 00000000470C: D1ED0062 00D24D27
	v_cmp_u_f32_e64 s[40:41], v102, v102                       // 000000004714: D0480028 0002CD66
	v_add3_u32 v18, v102, v21, 1                               // 00000000471C: D1FF0012 02062B66
	v_cndmask_b32_e64 v38, v18, v20, s[40:41]                  // 000000004724: D1000026 00A22912
	v_cmp_u_f32_e64 s[40:41], v103, v103                       // 00000000472C: D0480028 0002CF67
	v_add3_u32 v18, v103, v21, 1                               // 000000004734: D1FF0012 02062B67
	v_cndmask_b32_e64 v39, v18, v20, s[40:41]                  // 00000000473C: D1000027 00A22912
	v_perm_b32 v99, v39, v38, s52                              // 000000004744: D1ED0063 00D24D27
	v_cmp_u_f32_e64 s[40:41], v104, v104                       // 00000000474C: D0480028 0002D168
	v_add3_u32 v18, v104, v21, 1                               // 000000004754: D1FF0012 02062B68
	v_cndmask_b32_e64 v38, v18, v20, s[40:41]                  // 00000000475C: D1000026 00A22912
	v_cmp_u_f32_e64 s[40:41], v105, v105                       // 000000004764: D0480028 0002D369
	v_add3_u32 v18, v105, v21, 1                               // 00000000476C: D1FF0012 02062B69
	v_cndmask_b32_e64 v39, v18, v20, s[40:41]                  // 000000004774: D1000027 00A22912
	v_perm_b32 v100, v39, v38, s52                             // 00000000477C: D1ED0064 00D24D27
	v_cmp_u_f32_e64 s[40:41], v106, v106                       // 000000004784: D0480028 0002D56A
	v_add3_u32 v18, v106, v21, 1                               // 00000000478C: D1FF0012 02062B6A
	v_cndmask_b32_e64 v38, v18, v20, s[40:41]                  // 000000004794: D1000026 00A22912
	v_cmp_u_f32_e64 s[40:41], v107, v107                       // 00000000479C: D0480028 0002D76B
	v_add3_u32 v18, v107, v21, 1                               // 0000000047A4: D1FF0012 02062B6B
	v_cndmask_b32_e64 v39, v18, v20, s[40:41]                  // 0000000047AC: D1000027 00A22912
	v_perm_b32 v101, v39, v38, s52                             // 0000000047B4: D1ED0065 00D24D27
	v_cmp_u_f32_e64 s[40:41], v108, v108                       // 0000000047BC: D0480028 0002D96C
	v_add3_u32 v18, v108, v21, 1                               // 0000000047C4: D1FF0012 02062B6C
	v_cndmask_b32_e64 v38, v18, v20, s[40:41]                  // 0000000047CC: D1000026 00A22912
	v_cmp_u_f32_e64 s[40:41], v109, v109                       // 0000000047D4: D0480028 0002DB6D
	v_add3_u32 v18, v109, v21, 1                               // 0000000047DC: D1FF0012 02062B6D
	v_cndmask_b32_e64 v39, v18, v20, s[40:41]                  // 0000000047E4: D1000027 00A22912
	v_perm_b32 v102, v39, v38, s52                             // 0000000047EC: D1ED0066 00D24D27
	v_cmp_u_f32_e64 s[40:41], v110, v110                       // 0000000047F4: D0480028 0002DD6E
	v_add3_u32 v18, v110, v21, 1                               // 0000000047FC: D1FF0012 02062B6E
	v_cndmask_b32_e64 v38, v18, v20, s[40:41]                  // 000000004804: D1000026 00A22912
	v_cmp_u_f32_e64 s[40:41], v111, v111                       // 00000000480C: D0480028 0002DF6F
	v_add3_u32 v18, v111, v21, 1                               // 000000004814: D1FF0012 02062B6F
	v_cndmask_b32_e64 v39, v18, v20, s[40:41]                  // 00000000481C: D1000027 00A22912
	v_perm_b32 v103, v39, v38, s52                             // 000000004824: D1ED0067 00D24D27
	buffer_load_dwordx4 a[140:143], v139, s[20:23], 0 offen    // 00000000482C: E05C1000 80858C8B
	buffer_load_dwordx4 a[144:147], v140, s[20:23], 0 offen    // 000000004834: E05C1000 8085908C
	ds_write_b64 v13, v[96:97] offset:5248                     // 00000000483C: D89A1480 0000600D
	ds_write_b64 v13, v[98:99] offset:7296                     // 000000004844: D89A1C80 0000620D
	ds_write_b64 v13, v[100:101] offset:9344                   // 00000000484C: D89A2480 0000640D
	ds_write_b64 v13, v[102:103] offset:11392                  // 000000004854: D89A2C80 0000660D
	buffer_load_dwordx4 a[148:151], v141, s[20:23], 0 offen    // 00000000485C: E05C1000 8085948D
	s_waitcnt lgkmcnt(0)                                       // 000000004864: BF8CC07F
	s_barrier                                                  // 000000004868: BF8A0000
	ds_read_b64 v[96:97], v12 offset:5248                      // 00000000486C: D8EC1480 6000000C
	ds_read_b64 v[98:99], v12 offset:5376                      // 000000004874: D8EC1500 6200000C
	ds_read_b64 v[100:101], v12 offset:6272                    // 00000000487C: D8EC1880 6400000C
	ds_read_b64 v[102:103], v12 offset:6400                    // 000000004884: D8EC1900 6600000C
	ds_read_b64 v[104:105], v12 offset:7296                    // 00000000488C: D8EC1C80 6800000C
	ds_read_b64 v[106:107], v12 offset:7424                    // 000000004894: D8EC1D00 6A00000C
	ds_read_b64 v[108:109], v12 offset:8320                    // 00000000489C: D8EC2080 6C00000C
	ds_read_b64 v[110:111], v12 offset:8448                    // 0000000048A4: D8EC2100 6E00000C
	ds_read_b64 v[112:113], v12 offset:9344                    // 0000000048AC: D8EC2480 7000000C
	ds_read_b64 v[114:115], v12 offset:9472                    // 0000000048B4: D8EC2500 7200000C
	ds_read_b64 v[116:117], v12 offset:10368                   // 0000000048BC: D8EC2880 7400000C
	ds_read_b64 v[118:119], v12 offset:10496                   // 0000000048C4: D8EC2900 7600000C
	ds_read_b64 v[120:121], v12 offset:11392                   // 0000000048CC: D8EC2C80 7800000C
	ds_read_b64 v[122:123], v12 offset:11520                   // 0000000048D4: D8EC2D00 7A00000C
	ds_read_b64 v[124:125], v12 offset:12416                   // 0000000048DC: D8EC3080 7C00000C
	ds_read_b64 v[126:127], v12 offset:12544                   // 0000000048E4: D8EC3100 7E00000C
	buffer_load_dwordx4 a[152:155], v142, s[20:23], 0 offen    // 0000000048EC: E05C1000 8085988E
	buffer_load_dwordx4 a[156:159], v143, s[20:23], 0 offen    // 0000000048F4: E05C1000 80859C8F
	s_waitcnt lgkmcnt(0)                                       // 0000000048FC: BF8CC07F
	v_mul_f32_e32 v128, v49, v128                              // 000000004900: 0B010131
	v_mul_f32_e32 v129, v49, v129                              // 000000004904: 0B030331
	v_mul_f32_e32 v130, v49, v130                              // 000000004908: 0B050531
	v_mul_f32_e32 v131, v49, v131                              // 00000000490C: 0B070731
	v_mul_f32_e32 v132, v49, v132                              // 000000004910: 0B090931
	v_mul_f32_e32 v133, v49, v133                              // 000000004914: 0B0B0B31
	v_mul_f32_e32 v134, v49, v134                              // 000000004918: 0B0D0D31
	v_mul_f32_e32 v135, v49, v135                              // 00000000491C: 0B0F0F31
	s_waitcnt vmcnt(24)                                        // 000000004920: BF8C4F78
	v_mfma_f32_16x16x16_bf16 v[128:131], a[192:193], v[96:97], v[128:131]// 000000004924: D3E10080 0E02C1C0
	buffer_load_dwordx4 a[160:163], v136, s[20:23], 0 offen offset:1024// 00000000492C: E05C1400 8085A088
	v_mfma_f32_16x16x16_bf16 v[128:131], a[194:195], v[98:99], v[128:131]// 000000004934: D3E10080 0E02C5C2
	v_mfma_f32_16x16x16_bf16 v[128:131], a[196:197], v[100:101], v[128:131]// 00000000493C: D3E10080 0E02C9C4
	v_mfma_f32_16x16x16_bf16 v[128:131], a[198:199], v[102:103], v[128:131]// 000000004944: D3E10080 0E02CDC6
	v_mfma_f32_16x16x16_bf16 v[128:131], a[200:201], v[104:105], v[128:131]// 00000000494C: D3E10080 0E02D1C8
	buffer_load_dwordx4 a[164:167], v137, s[20:23], 0 offen offset:1024// 000000004954: E05C1400 8085A489
	v_mfma_f32_16x16x16_bf16 v[128:131], a[202:203], v[106:107], v[128:131]// 00000000495C: D3E10080 0E02D5CA
	v_mfma_f32_16x16x16_bf16 v[128:131], a[204:205], v[108:109], v[128:131]// 000000004964: D3E10080 0E02D9CC
	v_mfma_f32_16x16x16_bf16 v[128:131], a[206:207], v[110:111], v[128:131]// 00000000496C: D3E10080 0E02DDCE
	v_mfma_f32_16x16x16_bf16 v[128:131], a[208:209], v[112:113], v[128:131]// 000000004974: D3E10080 0E02E1D0
	buffer_load_dwordx4 a[168:171], v138, s[20:23], 0 offen offset:1024// 00000000497C: E05C1400 8085A88A
	v_mfma_f32_16x16x16_bf16 v[128:131], a[210:211], v[114:115], v[128:131]// 000000004984: D3E10080 0E02E5D2
	v_mfma_f32_16x16x16_bf16 v[128:131], a[212:213], v[116:117], v[128:131]// 00000000498C: D3E10080 0E02E9D4
	v_mfma_f32_16x16x16_bf16 v[128:131], a[214:215], v[118:119], v[128:131]// 000000004994: D3E10080 0E02EDD6
	v_mfma_f32_16x16x16_bf16 v[128:131], a[216:217], v[120:121], v[128:131]// 00000000499C: D3E10080 0E02F1D8
	buffer_load_dwordx4 a[172:175], v139, s[20:23], 0 offen offset:1024// 0000000049A4: E05C1400 8085AC8B
	v_mfma_f32_16x16x16_bf16 v[128:131], a[218:219], v[122:123], v[128:131]// 0000000049AC: D3E10080 0E02F5DA
	v_mfma_f32_16x16x16_bf16 v[128:131], a[220:221], v[124:125], v[128:131]// 0000000049B4: D3E10080 0E02F9DC
	v_mfma_f32_16x16x16_bf16 v[128:131], a[222:223], v[126:127], v[128:131]// 0000000049BC: D3E10080 0E02FDDE
	v_mfma_f32_16x16x16_bf16 v[132:135], a[224:225], v[96:97], v[132:135]// 0000000049C4: D3E10084 0E12C1E0
	buffer_load_dwordx4 a[176:179], v140, s[20:23], 0 offen offset:1024// 0000000049CC: E05C1400 8085B08C
	v_mfma_f32_16x16x16_bf16 v[132:135], a[226:227], v[98:99], v[132:135]// 0000000049D4: D3E10084 0E12C5E2
	v_mfma_f32_16x16x16_bf16 v[132:135], a[228:229], v[100:101], v[132:135]// 0000000049DC: D3E10084 0E12C9E4
	v_mfma_f32_16x16x16_bf16 v[132:135], a[230:231], v[102:103], v[132:135]// 0000000049E4: D3E10084 0E12CDE6
	v_mfma_f32_16x16x16_bf16 v[132:135], a[232:233], v[104:105], v[132:135]// 0000000049EC: D3E10084 0E12D1E8
	buffer_load_dwordx4 a[180:183], v141, s[20:23], 0 offen offset:1024// 0000000049F4: E05C1400 8085B48D
	v_mfma_f32_16x16x16_bf16 v[132:135], a[234:235], v[106:107], v[132:135]// 0000000049FC: D3E10084 0E12D5EA
	v_mfma_f32_16x16x16_bf16 v[132:135], a[236:237], v[108:109], v[132:135]// 000000004A04: D3E10084 0E12D9EC
	v_mfma_f32_16x16x16_bf16 v[132:135], a[238:239], v[110:111], v[132:135]// 000000004A0C: D3E10084 0E12DDEE
	v_mfma_f32_16x16x16_bf16 v[132:135], a[240:241], v[112:113], v[132:135]// 000000004A14: D3E10084 0E12E1F0
	buffer_load_dwordx4 a[184:187], v142, s[20:23], 0 offen offset:1024// 000000004A1C: E05C1400 8085B88E
	v_mfma_f32_16x16x16_bf16 v[132:135], a[242:243], v[114:115], v[132:135]// 000000004A24: D3E10084 0E12E5F2
	v_mfma_f32_16x16x16_bf16 v[132:135], a[244:245], v[116:117], v[132:135]// 000000004A2C: D3E10084 0E12E9F4
	v_mfma_f32_16x16x16_bf16 v[132:135], a[246:247], v[118:119], v[132:135]// 000000004A34: D3E10084 0E12EDF6
	v_mfma_f32_16x16x16_bf16 v[132:135], a[248:249], v[120:121], v[132:135]// 000000004A3C: D3E10084 0E12F1F8
	buffer_load_dwordx4 a[188:191], v143, s[20:23], 0 offen offset:1024// 000000004A44: E05C1400 8085BC8F
	v_mfma_f32_16x16x16_bf16 v[132:135], a[250:251], v[122:123], v[132:135]// 000000004A4C: D3E10084 0E12F5FA
	v_mfma_f32_16x16x16_bf16 v[132:135], a[252:253], v[124:125], v[132:135]// 000000004A54: D3E10084 0E12F9FC
	v_mfma_f32_16x16x16_bf16 v[132:135], a[254:255], v[126:127], v[132:135]// 000000004A5C: D3E10084 0E12FDFE
	s_lshr_b32 s60, s70, 4                                     // 000000004A64: 8F3C8446
	s_add_u32 s60, 48, s60                                     // 000000004A68: 803C3CB0
	s_cmp_ge_u32 s60, s73                                      // 000000004A6C: BF09493C
	s_cselect_b32 s56, 0, s56                                  // 000000004A70: 85383880
	v_mul_u32_u24_dpp v38, v17, v51 row_newbcast:0 row_mask:0xf bank_mask:0xf// 000000004A74: 104C66FA FF015011
	v_mul_u32_u24_dpp v39, v17, v51 row_newbcast:4 row_mask:0xf bank_mask:0xf// 000000004A7C: 104E66FA FF015411
	v_mul_u32_u24_dpp v40, v17, v51 row_newbcast:8 row_mask:0xf bank_mask:0xf// 000000004A84: 105066FA FF015811
	v_mul_u32_u24_dpp v41, v17, v51 row_newbcast:12 row_mask:0xf bank_mask:0xf// 000000004A8C: 105266FA FF015C11
	v_add_u32_e32 v26, v38, v6                                 // 000000004A94: 68340D26
	v_add_u32_e32 v27, v39, v6                                 // 000000004A98: 68360D27
	v_add_u32_e32 v28, v40, v6                                 // 000000004A9C: 68380D28
	v_add_u32_e32 v29, v41, v6                                 // 000000004AA0: 683A0D29
	v_mul_u32_u24_dpp v38, v17, v51 row_newbcast:1 row_mask:0xf bank_mask:0xf// 000000004AA4: 104C66FA FF015111
	v_mul_u32_u24_dpp v39, v17, v51 row_newbcast:2 row_mask:0xf bank_mask:0xf// 000000004AAC: 104E66FA FF015211
	v_mul_u32_u24_dpp v40, v17, v51 row_newbcast:5 row_mask:0xf bank_mask:0xf// 000000004AB4: 105066FA FF015511
	v_mul_u32_u24_dpp v41, v17, v51 row_newbcast:6 row_mask:0xf bank_mask:0xf// 000000004ABC: 105266FA FF015611
	v_add_u32_e32 v144, v38, v7                                // 000000004AC4: 69200F26
	v_add_u32_e32 v145, v39, v7                                // 000000004AC8: 69220F27
	v_add_u32_e32 v146, v40, v7                                // 000000004ACC: 69240F28
	v_add_u32_e32 v147, v41, v7                                // 000000004AD0: 69260F29
	v_mul_u32_u24_dpp v38, v17, v51 row_newbcast:9 row_mask:0xf bank_mask:0xf// 000000004AD4: 104C66FA FF015911
	v_mul_u32_u24_dpp v39, v17, v51 row_newbcast:10 row_mask:0xf bank_mask:0xf// 000000004ADC: 104E66FA FF015A11
	v_mul_u32_u24_dpp v40, v17, v51 row_newbcast:13 row_mask:0xf bank_mask:0xf// 000000004AE4: 105066FA FF015D11
	v_mul_u32_u24_dpp v41, v17, v51 row_newbcast:7 row_mask:0xf bank_mask:0xf// 000000004AEC: 105266FA FF015711
	v_add_u32_e32 v148, v38, v7                                // 000000004AF4: 69280F26
	v_add_u32_e32 v149, v39, v7                                // 000000004AF8: 692A0F27
	v_add_u32_e32 v150, v40, v7                                // 000000004AFC: 692C0F28
	v_add_u32_e32 v151, v41, v7                                // 000000004B00: 692E0F29
	v_add_u32_e32 v1, s56, v1                                  // 000000004B04: 68020238
	s_addk_i32 s70, 0x100                                      // 000000004B08: B7460100
	s_cmp_lt_i32 s70, s71                                      // 000000004B0C: BF044746
	s_cbranch_scc0 label_05F4                                  // 000000004B10: BF84FBAF
	s_branch label_05F7                                        // 000000004B14: BF82FBB1

0000000000004b18 <label_0A46>:
	s_lshr_b32 s60, s71, 4                                     // 000000004B18: 8F3C8447
	s_cmp_eq_i32 s60, s73                                      // 000000004B1C: BF00493C
	s_cbranch_scc1 label_0E9F                                  // 000000004B20: BF850456

0000000000004b24 <label_0A49>:
	s_lshr_b32 s60, s71, 8                                     // 000000004B24: 8F3C8847
	s_and_b32 s60, s60, 1                                      // 000000004B28: 863C813C
	s_cmp_eq_i32 s60, 1                                        // 000000004B2C: BF00813C
	s_cbranch_scc1 label_0C76                                  // 000000004B30: BF850229
	s_waitcnt vmcnt(16) lgkmcnt(0)                             // 000000004B34: BF8C4070
	s_barrier                                                  // 000000004B38: BF8A0000
	v_mfma_f32_16x16x16_bf16 v[96:99], a[0:1], v[80:81], 0     // 000000004B3C: D3E10060 0A02A100
	v_mfma_f32_16x16x16_bf16 v[96:99], a[2:3], v[82:83], v[96:99]// 000000004B44: D3E10060 0D82A502
	v_mfma_f32_16x16x16_bf16 v[96:99], a[4:5], v[84:85], v[96:99]// 000000004B4C: D3E10060 0D82A904
	v_mfma_f32_16x16x16_bf16 v[96:99], a[6:7], v[86:87], v[96:99]// 000000004B54: D3E10060 0D82AD06
	v_mfma_f32_16x16x16_bf16 v[96:99], a[8:9], v[88:89], v[96:99]// 000000004B5C: D3E10060 0D82B108
	v_mfma_f32_16x16x16_bf16 v[96:99], a[10:11], v[90:91], v[96:99]// 000000004B64: D3E10060 0D82B50A
	v_mfma_f32_16x16x16_bf16 v[96:99], a[12:13], v[92:93], v[96:99]// 000000004B6C: D3E10060 0D82B90C
	v_mfma_f32_16x16x16_bf16 v[96:99], a[14:15], v[94:95], v[96:99]// 000000004B74: D3E10060 0D82BD0E
	v_mfma_f32_16x16x16_bf16 v[100:103], a[16:17], v[80:81], 0 // 000000004B7C: D3E10064 0A02A110
	v_mfma_f32_16x16x16_bf16 v[100:103], a[18:19], v[82:83], v[100:103]// 000000004B84: D3E10064 0D92A512
	v_mfma_f32_16x16x16_bf16 v[100:103], a[20:21], v[84:85], v[100:103]// 000000004B8C: D3E10064 0D92A914
	v_mfma_f32_16x16x16_bf16 v[100:103], a[22:23], v[86:87], v[100:103]// 000000004B94: D3E10064 0D92AD16
	v_mfma_f32_16x16x16_bf16 v[100:103], a[24:25], v[88:89], v[100:103]// 000000004B9C: D3E10064 0D92B118
	v_mfma_f32_16x16x16_bf16 v[100:103], a[26:27], v[90:91], v[100:103]// 000000004BA4: D3E10064 0D92B51A
	v_mfma_f32_16x16x16_bf16 v[100:103], a[28:29], v[92:93], v[100:103]// 000000004BAC: D3E10064 0D92B91C
	v_mfma_f32_16x16x16_bf16 v[100:103], a[30:31], v[94:95], v[100:103]// 000000004BB4: D3E10064 0D92BD1E
	v_mfma_f32_16x16x16_bf16 v[104:107], a[32:33], v[80:81], 0 // 000000004BBC: D3E10068 0A02A120
	v_mfma_f32_16x16x16_bf16 v[104:107], a[34:35], v[82:83], v[104:107]// 000000004BC4: D3E10068 0DA2A522
	v_mfma_f32_16x16x16_bf16 v[104:107], a[36:37], v[84:85], v[104:107]// 000000004BCC: D3E10068 0DA2A924
	v_mfma_f32_16x16x16_bf16 v[104:107], a[38:39], v[86:87], v[104:107]// 000000004BD4: D3E10068 0DA2AD26
	v_mfma_f32_16x16x16_bf16 v[104:107], a[40:41], v[88:89], v[104:107]// 000000004BDC: D3E10068 0DA2B128
	v_mfma_f32_16x16x16_bf16 v[104:107], a[42:43], v[90:91], v[104:107]// 000000004BE4: D3E10068 0DA2B52A
	v_mfma_f32_16x16x16_bf16 v[104:107], a[44:45], v[92:93], v[104:107]// 000000004BEC: D3E10068 0DA2B92C
	v_mfma_f32_16x16x16_bf16 v[104:107], a[46:47], v[94:95], v[104:107]// 000000004BF4: D3E10068 0DA2BD2E
	v_mfma_f32_16x16x16_bf16 v[108:111], a[48:49], v[80:81], 0 // 000000004BFC: D3E1006C 0A02A130
	v_mfma_f32_16x16x16_bf16 v[108:111], a[50:51], v[82:83], v[108:111]// 000000004C04: D3E1006C 0DB2A532
	v_mfma_f32_16x16x16_bf16 v[108:111], a[52:53], v[84:85], v[108:111]// 000000004C0C: D3E1006C 0DB2A934
	v_mfma_f32_16x16x16_bf16 v[108:111], a[54:55], v[86:87], v[108:111]// 000000004C14: D3E1006C 0DB2AD36
	v_mfma_f32_16x16x16_bf16 v[108:111], a[56:57], v[88:89], v[108:111]// 000000004C1C: D3E1006C 0DB2B138
	v_mfma_f32_16x16x16_bf16 v[108:111], a[58:59], v[90:91], v[108:111]// 000000004C24: D3E1006C 0DB2B53A
	v_mfma_f32_16x16x16_bf16 v[108:111], a[60:61], v[92:93], v[108:111]// 000000004C2C: D3E1006C 0DB2B93C
	v_mfma_f32_16x16x16_bf16 v[108:111], a[62:63], v[94:95], v[108:111]// 000000004C34: D3E1006C 0DB2BD3E
	s_nop 8                                                    // 000000004C3C: BF800008
	s_and_b32 s60, s72, 0xff                                   // 000000004C40: 863CFF48 000000FF
	v_mov_b32_e32 v53, s60                                     // 000000004C48: 7E6A023C
	v_lshrrev_b32_e32 v30, 4, v0                               // 000000004C4C: 203C0084
	v_mul_i32_i24_e32 v30, 4, v30                              // 000000004C50: 0C3C3C84
	s_mul_i32 s60, s7, 16                                      // 000000004C54: 923C9007
	v_add_u32_e32 v30, s60, v30                                // 000000004C58: 683C3C3C
	v_add_u32_e32 v31, 1, v30                                  // 000000004C5C: 683E3C81
	v_add_u32_e32 v32, 2, v30                                  // 000000004C60: 68403C82
	v_add_u32_e32 v33, 3, v30                                  // 000000004C64: 68423C83
	v_mov_b32_e32 v38, v52                                     // 000000004C68: 7E4C0334
	v_cmp_lt_u32_e64 s[40:41], v30, v53                        // 000000004C6C: D0C90028 00026B1E
	v_add_u32_e32 v30, 64, v30                                 // 000000004C74: 683C3CC0
	s_nop 0                                                    // 000000004C78: BF800000
	v_cndmask_b32_e64 v96, v38, v96, s[40:41]                  // 000000004C7C: D1000060 00A2C126
	v_cmp_lt_u32_e64 s[40:41], v31, v53                        // 000000004C84: D0C90028 00026B1F
	v_add_u32_e32 v31, 64, v31                                 // 000000004C8C: 683E3EC0
	s_nop 0                                                    // 000000004C90: BF800000
	v_cndmask_b32_e64 v97, v38, v97, s[40:41]                  // 000000004C94: D1000061 00A2C326
	v_cmp_lt_u32_e64 s[40:41], v32, v53                        // 000000004C9C: D0C90028 00026B20
	v_add_u32_e32 v32, 64, v32                                 // 000000004CA4: 684040C0
	s_nop 0                                                    // 000000004CA8: BF800000
	v_cndmask_b32_e64 v98, v38, v98, s[40:41]                  // 000000004CAC: D1000062 00A2C526
	v_cmp_lt_u32_e64 s[40:41], v33, v53                        // 000000004CB4: D0C90028 00026B21
	v_add_u32_e32 v33, 64, v33                                 // 000000004CBC: 684242C0
	s_nop 0                                                    // 000000004CC0: BF800000
	v_cndmask_b32_e64 v99, v38, v99, s[40:41]                  // 000000004CC4: D1000063 00A2C726
	v_cmp_lt_u32_e64 s[40:41], v30, v53                        // 000000004CCC: D0C90028 00026B1E
	v_add_u32_e32 v30, 64, v30                                 // 000000004CD4: 683C3CC0
	s_nop 0                                                    // 000000004CD8: BF800000
	v_cndmask_b32_e64 v100, v38, v100, s[40:41]                // 000000004CDC: D1000064 00A2C926
	v_cmp_lt_u32_e64 s[40:41], v31, v53                        // 000000004CE4: D0C90028 00026B1F
	v_add_u32_e32 v31, 64, v31                                 // 000000004CEC: 683E3EC0
	s_nop 0                                                    // 000000004CF0: BF800000
	v_cndmask_b32_e64 v101, v38, v101, s[40:41]                // 000000004CF4: D1000065 00A2CB26
	v_cmp_lt_u32_e64 s[40:41], v32, v53                        // 000000004CFC: D0C90028 00026B20
	v_add_u32_e32 v32, 64, v32                                 // 000000004D04: 684040C0
	s_nop 0                                                    // 000000004D08: BF800000
	v_cndmask_b32_e64 v102, v38, v102, s[40:41]                // 000000004D0C: D1000066 00A2CD26
	v_cmp_lt_u32_e64 s[40:41], v33, v53                        // 000000004D14: D0C90028 00026B21
	v_add_u32_e32 v33, 64, v33                                 // 000000004D1C: 684242C0
	s_nop 0                                                    // 000000004D20: BF800000
	v_cndmask_b32_e64 v103, v38, v103, s[40:41]                // 000000004D24: D1000067 00A2CF26
	v_cmp_lt_u32_e64 s[40:41], v30, v53                        // 000000004D2C: D0C90028 00026B1E
	v_add_u32_e32 v30, 64, v30                                 // 000000004D34: 683C3CC0
	s_nop 0                                                    // 000000004D38: BF800000
	v_cndmask_b32_e64 v104, v38, v104, s[40:41]                // 000000004D3C: D1000068 00A2D126
	v_cmp_lt_u32_e64 s[40:41], v31, v53                        // 000000004D44: D0C90028 00026B1F
	v_add_u32_e32 v31, 64, v31                                 // 000000004D4C: 683E3EC0
	s_nop 0                                                    // 000000004D50: BF800000
	v_cndmask_b32_e64 v105, v38, v105, s[40:41]                // 000000004D54: D1000069 00A2D326
	v_cmp_lt_u32_e64 s[40:41], v32, v53                        // 000000004D5C: D0C90028 00026B20
	v_add_u32_e32 v32, 64, v32                                 // 000000004D64: 684040C0
	s_nop 0                                                    // 000000004D68: BF800000
	v_cndmask_b32_e64 v106, v38, v106, s[40:41]                // 000000004D6C: D100006A 00A2D526
	v_cmp_lt_u32_e64 s[40:41], v33, v53                        // 000000004D74: D0C90028 00026B21
	v_add_u32_e32 v33, 64, v33                                 // 000000004D7C: 684242C0
	s_nop 0                                                    // 000000004D80: BF800000
	v_cndmask_b32_e64 v107, v38, v107, s[40:41]                // 000000004D84: D100006B 00A2D726
	v_cmp_lt_u32_e64 s[40:41], v30, v53                        // 000000004D8C: D0C90028 00026B1E
	v_add_u32_e32 v30, 64, v30                                 // 000000004D94: 683C3CC0
	s_nop 0                                                    // 000000004D98: BF800000
	v_cndmask_b32_e64 v108, v38, v108, s[40:41]                // 000000004D9C: D100006C 00A2D926
	v_cmp_lt_u32_e64 s[40:41], v31, v53                        // 000000004DA4: D0C90028 00026B1F
	v_add_u32_e32 v31, 64, v31                                 // 000000004DAC: 683E3EC0
	s_nop 0                                                    // 000000004DB0: BF800000
	v_cndmask_b32_e64 v109, v38, v109, s[40:41]                // 000000004DB4: D100006D 00A2DB26
	v_cmp_lt_u32_e64 s[40:41], v32, v53                        // 000000004DBC: D0C90028 00026B20
	v_add_u32_e32 v32, 64, v32                                 // 000000004DC4: 684040C0
	s_nop 0                                                    // 000000004DC8: BF800000
	v_cndmask_b32_e64 v110, v38, v110, s[40:41]                // 000000004DCC: D100006E 00A2DD26
	v_cmp_lt_u32_e64 s[40:41], v33, v53                        // 000000004DD4: D0C90028 00026B21
	v_add_u32_e32 v33, 64, v33                                 // 000000004DDC: 684242C0
	s_nop 0                                                    // 000000004DE0: BF800000
	v_cndmask_b32_e64 v111, v38, v111, s[40:41]                // 000000004DE4: D100006F 00A2DF26
	s_nop 8                                                    // 000000004DEC: BF800008
	v_mov_b32_e32 v48, v96                                     // 000000004DF0: 7E600360
	v_max3_f32 v48, v96, v97, v48                              // 000000004DF4: D1D30030 04C2C360
	v_max3_f32 v48, v98, v99, v48                              // 000000004DFC: D1D30030 04C2C762
	v_max3_f32 v48, v100, v101, v48                            // 000000004E04: D1D30030 04C2CB64
	v_max3_f32 v48, v102, v103, v48                            // 000000004E0C: D1D30030 04C2CF66
	v_max3_f32 v48, v104, v105, v48                            // 000000004E14: D1D30030 04C2D368
	v_max3_f32 v48, v106, v107, v48                            // 000000004E1C: D1D30030 04C2D76A
	v_max3_f32 v48, v108, v109, v48                            // 000000004E24: D1D30030 04C2DB6C
	v_max3_f32 v48, v110, v111, v48                            // 000000004E2C: D1D30030 04C2DF6E
	ds_write_b32 v11, v48 offset:4224                          // 000000004E34: D81A1080 0000300B
	s_waitcnt lgkmcnt(0)                                       // 000000004E3C: BF8CC07F
	s_barrier                                                  // 000000004E40: BF8A0000
	ds_read_b32 v64, v10 offset:4224                           // 000000004E44: D86C1080 4000000A
	ds_read_b32 v65, v10 offset:4288                           // 000000004E4C: D86C10C0 4100000A
	ds_read_b32 v66, v10 offset:4352                           // 000000004E54: D86C1100 4200000A
	ds_read_b32 v67, v10 offset:4416                           // 000000004E5C: D86C1140 4300000A
	ds_read_b32 v68, v10 offset:4480                           // 000000004E64: D86C1180 4400000A
	ds_read_b32 v69, v10 offset:4544                           // 000000004E6C: D86C11C0 4500000A
	ds_read_b32 v70, v10 offset:4608                           // 000000004E74: D86C1200 4600000A
	ds_read_b32 v71, v10 offset:4672                           // 000000004E7C: D86C1240 4700000A
	ds_read_b32 v72, v10 offset:4736                           // 000000004E84: D86C1280 4800000A
	ds_read_b32 v73, v10 offset:4800                           // 000000004E8C: D86C12C0 4900000A
	ds_read_b32 v74, v10 offset:4864                           // 000000004E94: D86C1300 4A00000A
	ds_read_b32 v75, v10 offset:4928                           // 000000004E9C: D86C1340 4B00000A
	ds_read_b32 v76, v10 offset:4992                           // 000000004EA4: D86C1380 4C00000A
	ds_read_b32 v77, v10 offset:5056                           // 000000004EAC: D86C13C0 4D00000A
	ds_read_b32 v78, v10 offset:5120                           // 000000004EB4: D86C1400 4E00000A
	ds_read_b32 v79, v10 offset:5184                           // 000000004EBC: D86C1440 4F00000A
	s_waitcnt lgkmcnt(0)                                       // 000000004EC4: BF8CC07F
	v_max3_f32 v48, v64, v65, v48                              // 000000004EC8: D1D30030 04C28340
	v_max3_f32 v48, v66, v67, v48                              // 000000004ED0: D1D30030 04C28742
	v_max3_f32 v48, v68, v69, v48                              // 000000004ED8: D1D30030 04C28B44
	v_max3_f32 v48, v70, v71, v48                              // 000000004EE0: D1D30030 04C28F46
	v_max3_f32 v48, v72, v73, v48                              // 000000004EE8: D1D30030 04C29348
	v_max3_f32 v48, v74, v75, v48                              // 000000004EF0: D1D30030 04C2974A
	v_max3_f32 v48, v76, v77, v48                              // 000000004EF8: D1D30030 04C29B4C
	v_max3_f32 v48, v78, v79, v48                              // 000000004F00: D1D30030 04C29F4E
	v_cmp_eq_u32_e64 s[40:41], v52, v14                        // 000000004F08: D0CA0028 00021D34
	s_nop 1                                                    // 000000004F10: BF800001
	v_max_f32_e32 v15, v48, v14                                // 000000004F14: 161E1D30
	v_sub_f32_e32 v49, v14, v15                                // 000000004F18: 04621F0E
	v_cndmask_b32_e64 v49, v49, 0, s[40:41]                    // 000000004F1C: D1000031 00A10131
	v_mov_b32_e32 v14, v15                                     // 000000004F24: 7E1C030F
	v_mul_f32_e32 v50, s64, v15                                // 000000004F28: 0A641E40
	v_mul_f32_e32 v49, s64, v49                                // 000000004F2C: 0A626240
	v_exp_f32_e32 v49, v49                                     // 000000004F30: 7E624131
	v_fma_f32 v96, v96, s64, -v50                              // 000000004F34: D1CB0060 84C88160
	v_fma_f32 v97, v97, s64, -v50                              // 000000004F3C: D1CB0061 84C88161
	v_fma_f32 v98, v98, s64, -v50                              // 000000004F44: D1CB0062 84C88162
	v_fma_f32 v99, v99, s64, -v50                              // 000000004F4C: D1CB0063 84C88163
	v_fma_f32 v100, v100, s64, -v50                            // 000000004F54: D1CB0064 84C88164
	v_fma_f32 v101, v101, s64, -v50                            // 000000004F5C: D1CB0065 84C88165
	v_fma_f32 v102, v102, s64, -v50                            // 000000004F64: D1CB0066 84C88166
	v_fma_f32 v103, v103, s64, -v50                            // 000000004F6C: D1CB0067 84C88167
	v_fma_f32 v104, v104, s64, -v50                            // 000000004F74: D1CB0068 84C88168
	v_fma_f32 v105, v105, s64, -v50                            // 000000004F7C: D1CB0069 84C88169
	v_fma_f32 v106, v106, s64, -v50                            // 000000004F84: D1CB006A 84C8816A
	v_fma_f32 v107, v107, s64, -v50                            // 000000004F8C: D1CB006B 84C8816B
	v_fma_f32 v108, v108, s64, -v50                            // 000000004F94: D1CB006C 84C8816C
	v_fma_f32 v109, v109, s64, -v50                            // 000000004F9C: D1CB006D 84C8816D
	v_fma_f32 v110, v110, s64, -v50                            // 000000004FA4: D1CB006E 84C8816E
	v_fma_f32 v111, v111, s64, -v50                            // 000000004FAC: D1CB006F 84C8816F
	v_exp_f32_e32 v96, v96                                     // 000000004FB4: 7EC04160
	v_exp_f32_e32 v97, v97                                     // 000000004FB8: 7EC24161
	v_exp_f32_e32 v98, v98                                     // 000000004FBC: 7EC44162
	v_exp_f32_e32 v99, v99                                     // 000000004FC0: 7EC64163
	v_exp_f32_e32 v100, v100                                   // 000000004FC4: 7EC84164
	v_exp_f32_e32 v101, v101                                   // 000000004FC8: 7ECA4165
	v_exp_f32_e32 v102, v102                                   // 000000004FCC: 7ECC4166
	v_exp_f32_e32 v103, v103                                   // 000000004FD0: 7ECE4167
	v_exp_f32_e32 v104, v104                                   // 000000004FD4: 7ED04168
	v_exp_f32_e32 v105, v105                                   // 000000004FD8: 7ED24169
	v_exp_f32_e32 v106, v106                                   // 000000004FDC: 7ED4416A
	v_exp_f32_e32 v107, v107                                   // 000000004FE0: 7ED6416B
	v_exp_f32_e32 v108, v108                                   // 000000004FE4: 7ED8416C
	v_exp_f32_e32 v109, v109                                   // 000000004FE8: 7EDA416D
	v_exp_f32_e32 v110, v110                                   // 000000004FEC: 7EDC416E
	v_exp_f32_e32 v111, v111                                   // 000000004FF0: 7EDE416F
	v_mul_f32_e32 v42, v49, v42                                // 000000004FF4: 0A545531
	v_mov_b32_e32 v43, v96                                     // 000000004FF8: 7E560360
	v_add_f32_e32 v43, v97, v43                                // 000000004FFC: 02565761
	v_add_f32_e32 v43, v98, v43                                // 000000005000: 02565762
	v_add_f32_e32 v43, v99, v43                                // 000000005004: 02565763
	v_add_f32_e32 v43, v100, v43                               // 000000005008: 02565764
	v_add_f32_e32 v43, v101, v43                               // 00000000500C: 02565765
	v_add_f32_e32 v43, v102, v43                               // 000000005010: 02565766
	v_add_f32_e32 v43, v103, v43                               // 000000005014: 02565767
	;; [unrolled: 1-line block ×3, first 2 shown]
	v_add_f32_e32 v43, v105, v43                               // 00000000501C: 02565769
	v_add_f32_e32 v43, v106, v43                               // 000000005020: 0256576A
	v_add_f32_e32 v43, v107, v43                               // 000000005024: 0256576B
	v_add_f32_e32 v43, v108, v43                               // 000000005028: 0256576C
	v_add_f32_e32 v43, v109, v43                               // 00000000502C: 0256576D
	v_add_f32_e32 v43, v110, v43                               // 000000005030: 0256576E
	v_add_f32_e32 v43, v111, v43                               // 000000005034: 0256576F
	v_add_f32_e32 v42, v43, v42                                // 000000005038: 0254552B
	v_cmp_u_f32_e64 s[40:41], v96, v96                         // 00000000503C: D0480028 0002C160
	v_add3_u32 v18, v96, v21, 1                                // 000000005044: D1FF0012 02062B60
	v_cndmask_b32_e64 v38, v18, v20, s[40:41]                  // 00000000504C: D1000026 00A22912
	v_cmp_u_f32_e64 s[40:41], v97, v97                         // 000000005054: D0480028 0002C361
	v_add3_u32 v18, v97, v21, 1                                // 00000000505C: D1FF0012 02062B61
	v_cndmask_b32_e64 v39, v18, v20, s[40:41]                  // 000000005064: D1000027 00A22912
	v_perm_b32 v96, v39, v38, s52                              // 00000000506C: D1ED0060 00D24D27
	v_cmp_u_f32_e64 s[40:41], v98, v98                         // 000000005074: D0480028 0002C562
	v_add3_u32 v18, v98, v21, 1                                // 00000000507C: D1FF0012 02062B62
	v_cndmask_b32_e64 v38, v18, v20, s[40:41]                  // 000000005084: D1000026 00A22912
	v_cmp_u_f32_e64 s[40:41], v99, v99                         // 00000000508C: D0480028 0002C763
	v_add3_u32 v18, v99, v21, 1                                // 000000005094: D1FF0012 02062B63
	v_cndmask_b32_e64 v39, v18, v20, s[40:41]                  // 00000000509C: D1000027 00A22912
	v_perm_b32 v97, v39, v38, s52                              // 0000000050A4: D1ED0061 00D24D27
	v_cmp_u_f32_e64 s[40:41], v100, v100                       // 0000000050AC: D0480028 0002C964
	v_add3_u32 v18, v100, v21, 1                               // 0000000050B4: D1FF0012 02062B64
	v_cndmask_b32_e64 v38, v18, v20, s[40:41]                  // 0000000050BC: D1000026 00A22912
	v_cmp_u_f32_e64 s[40:41], v101, v101                       // 0000000050C4: D0480028 0002CB65
	v_add3_u32 v18, v101, v21, 1                               // 0000000050CC: D1FF0012 02062B65
	v_cndmask_b32_e64 v39, v18, v20, s[40:41]                  // 0000000050D4: D1000027 00A22912
	v_perm_b32 v98, v39, v38, s52                              // 0000000050DC: D1ED0062 00D24D27
	v_cmp_u_f32_e64 s[40:41], v102, v102                       // 0000000050E4: D0480028 0002CD66
	v_add3_u32 v18, v102, v21, 1                               // 0000000050EC: D1FF0012 02062B66
	v_cndmask_b32_e64 v38, v18, v20, s[40:41]                  // 0000000050F4: D1000026 00A22912
	v_cmp_u_f32_e64 s[40:41], v103, v103                       // 0000000050FC: D0480028 0002CF67
	v_add3_u32 v18, v103, v21, 1                               // 000000005104: D1FF0012 02062B67
	v_cndmask_b32_e64 v39, v18, v20, s[40:41]                  // 00000000510C: D1000027 00A22912
	v_perm_b32 v99, v39, v38, s52                              // 000000005114: D1ED0063 00D24D27
	v_cmp_u_f32_e64 s[40:41], v104, v104                       // 00000000511C: D0480028 0002D168
	v_add3_u32 v18, v104, v21, 1                               // 000000005124: D1FF0012 02062B68
	v_cndmask_b32_e64 v38, v18, v20, s[40:41]                  // 00000000512C: D1000026 00A22912
	v_cmp_u_f32_e64 s[40:41], v105, v105                       // 000000005134: D0480028 0002D369
	v_add3_u32 v18, v105, v21, 1                               // 00000000513C: D1FF0012 02062B69
	v_cndmask_b32_e64 v39, v18, v20, s[40:41]                  // 000000005144: D1000027 00A22912
	v_perm_b32 v100, v39, v38, s52                             // 00000000514C: D1ED0064 00D24D27
	v_cmp_u_f32_e64 s[40:41], v106, v106                       // 000000005154: D0480028 0002D56A
	v_add3_u32 v18, v106, v21, 1                               // 00000000515C: D1FF0012 02062B6A
	v_cndmask_b32_e64 v38, v18, v20, s[40:41]                  // 000000005164: D1000026 00A22912
	v_cmp_u_f32_e64 s[40:41], v107, v107                       // 00000000516C: D0480028 0002D76B
	v_add3_u32 v18, v107, v21, 1                               // 000000005174: D1FF0012 02062B6B
	v_cndmask_b32_e64 v39, v18, v20, s[40:41]                  // 00000000517C: D1000027 00A22912
	v_perm_b32 v101, v39, v38, s52                             // 000000005184: D1ED0065 00D24D27
	v_cmp_u_f32_e64 s[40:41], v108, v108                       // 00000000518C: D0480028 0002D96C
	v_add3_u32 v18, v108, v21, 1                               // 000000005194: D1FF0012 02062B6C
	v_cndmask_b32_e64 v38, v18, v20, s[40:41]                  // 00000000519C: D1000026 00A22912
	v_cmp_u_f32_e64 s[40:41], v109, v109                       // 0000000051A4: D0480028 0002DB6D
	v_add3_u32 v18, v109, v21, 1                               // 0000000051AC: D1FF0012 02062B6D
	v_cndmask_b32_e64 v39, v18, v20, s[40:41]                  // 0000000051B4: D1000027 00A22912
	v_perm_b32 v102, v39, v38, s52                             // 0000000051BC: D1ED0066 00D24D27
	v_cmp_u_f32_e64 s[40:41], v110, v110                       // 0000000051C4: D0480028 0002DD6E
	v_add3_u32 v18, v110, v21, 1                               // 0000000051CC: D1FF0012 02062B6E
	v_cndmask_b32_e64 v38, v18, v20, s[40:41]                  // 0000000051D4: D1000026 00A22912
	v_cmp_u_f32_e64 s[40:41], v111, v111                       // 0000000051DC: D0480028 0002DF6F
	v_add3_u32 v18, v111, v21, 1                               // 0000000051E4: D1FF0012 02062B6F
	v_cndmask_b32_e64 v39, v18, v20, s[40:41]                  // 0000000051EC: D1000027 00A22912
	v_perm_b32 v103, v39, v38, s52                             // 0000000051F4: D1ED0067 00D24D27
	ds_write_b64 v13, v[96:97] offset:5248                     // 0000000051FC: D89A1480 0000600D
	ds_write_b64 v13, v[98:99] offset:7296                     // 000000005204: D89A1C80 0000620D
	ds_write_b64 v13, v[100:101] offset:9344                   // 00000000520C: D89A2480 0000640D
	ds_write_b64 v13, v[102:103] offset:11392                  // 000000005214: D89A2C80 0000660D
	s_waitcnt lgkmcnt(0)                                       // 00000000521C: BF8CC07F
	s_barrier                                                  // 000000005220: BF8A0000
	ds_read_b64 v[96:97], v12 offset:5248                      // 000000005224: D8EC1480 6000000C
	ds_read_b64 v[98:99], v12 offset:5376                      // 00000000522C: D8EC1500 6200000C
	ds_read_b64 v[100:101], v12 offset:6272                    // 000000005234: D8EC1880 6400000C
	ds_read_b64 v[102:103], v12 offset:6400                    // 00000000523C: D8EC1900 6600000C
	ds_read_b64 v[104:105], v12 offset:7296                    // 000000005244: D8EC1C80 6800000C
	ds_read_b64 v[106:107], v12 offset:7424                    // 00000000524C: D8EC1D00 6A00000C
	ds_read_b64 v[108:109], v12 offset:8320                    // 000000005254: D8EC2080 6C00000C
	ds_read_b64 v[110:111], v12 offset:8448                    // 00000000525C: D8EC2100 6E00000C
	ds_read_b64 v[112:113], v12 offset:9344                    // 000000005264: D8EC2480 7000000C
	ds_read_b64 v[114:115], v12 offset:9472                    // 00000000526C: D8EC2500 7200000C
	ds_read_b64 v[116:117], v12 offset:10368                   // 000000005274: D8EC2880 7400000C
	ds_read_b64 v[118:119], v12 offset:10496                   // 00000000527C: D8EC2900 7600000C
	ds_read_b64 v[120:121], v12 offset:11392                   // 000000005284: D8EC2C80 7800000C
	ds_read_b64 v[122:123], v12 offset:11520                   // 00000000528C: D8EC2D00 7A00000C
	ds_read_b64 v[124:125], v12 offset:12416                   // 000000005294: D8EC3080 7C00000C
	ds_read_b64 v[126:127], v12 offset:12544                   // 00000000529C: D8EC3100 7E00000C
	s_waitcnt lgkmcnt(0)                                       // 0000000052A4: BF8CC07F
	v_mul_f32_e32 v128, v49, v128                              // 0000000052A8: 0B010131
	v_mul_f32_e32 v129, v49, v129                              // 0000000052AC: 0B030331
	v_mul_f32_e32 v130, v49, v130                              // 0000000052B0: 0B050531
	v_mul_f32_e32 v131, v49, v131                              // 0000000052B4: 0B070731
	v_mul_f32_e32 v132, v49, v132                              // 0000000052B8: 0B090931
	v_mul_f32_e32 v133, v49, v133                              // 0000000052BC: 0B0B0B31
	v_mul_f32_e32 v134, v49, v134                              // 0000000052C0: 0B0D0D31
	v_mul_f32_e32 v135, v49, v135                              // 0000000052C4: 0B0F0F31
	s_waitcnt vmcnt(0)                                         // 0000000052C8: BF8C0F70
	s_barrier                                                  // 0000000052CC: BF8A0000
	v_mfma_f32_16x16x16_bf16 v[128:131], a[128:129], v[96:97], v[128:131]// 0000000052D0: D3E10080 0E02C180
	v_mfma_f32_16x16x16_bf16 v[128:131], a[130:131], v[98:99], v[128:131]// 0000000052D8: D3E10080 0E02C582
	v_mfma_f32_16x16x16_bf16 v[128:131], a[132:133], v[100:101], v[128:131]// 0000000052E0: D3E10080 0E02C984
	v_mfma_f32_16x16x16_bf16 v[128:131], a[134:135], v[102:103], v[128:131]// 0000000052E8: D3E10080 0E02CD86
	v_mfma_f32_16x16x16_bf16 v[128:131], a[136:137], v[104:105], v[128:131]// 0000000052F0: D3E10080 0E02D188
	v_mfma_f32_16x16x16_bf16 v[128:131], a[138:139], v[106:107], v[128:131]// 0000000052F8: D3E10080 0E02D58A
	v_mfma_f32_16x16x16_bf16 v[128:131], a[140:141], v[108:109], v[128:131]// 000000005300: D3E10080 0E02D98C
	v_mfma_f32_16x16x16_bf16 v[128:131], a[142:143], v[110:111], v[128:131]// 000000005308: D3E10080 0E02DD8E
	v_mfma_f32_16x16x16_bf16 v[128:131], a[144:145], v[112:113], v[128:131]// 000000005310: D3E10080 0E02E190
	v_mfma_f32_16x16x16_bf16 v[128:131], a[146:147], v[114:115], v[128:131]// 000000005318: D3E10080 0E02E592
	v_mfma_f32_16x16x16_bf16 v[128:131], a[148:149], v[116:117], v[128:131]// 000000005320: D3E10080 0E02E994
	v_mfma_f32_16x16x16_bf16 v[128:131], a[150:151], v[118:119], v[128:131]// 000000005328: D3E10080 0E02ED96
	v_mfma_f32_16x16x16_bf16 v[128:131], a[152:153], v[120:121], v[128:131]// 000000005330: D3E10080 0E02F198
	v_mfma_f32_16x16x16_bf16 v[128:131], a[154:155], v[122:123], v[128:131]// 000000005338: D3E10080 0E02F59A
	v_mfma_f32_16x16x16_bf16 v[128:131], a[156:157], v[124:125], v[128:131]// 000000005340: D3E10080 0E02F99C
	v_mfma_f32_16x16x16_bf16 v[128:131], a[158:159], v[126:127], v[128:131]// 000000005348: D3E10080 0E02FD9E
	v_mfma_f32_16x16x16_bf16 v[132:135], a[160:161], v[96:97], v[132:135]// 000000005350: D3E10084 0E12C1A0
	v_mfma_f32_16x16x16_bf16 v[132:135], a[162:163], v[98:99], v[132:135]// 000000005358: D3E10084 0E12C5A2
	v_mfma_f32_16x16x16_bf16 v[132:135], a[164:165], v[100:101], v[132:135]// 000000005360: D3E10084 0E12C9A4
	v_mfma_f32_16x16x16_bf16 v[132:135], a[166:167], v[102:103], v[132:135]// 000000005368: D3E10084 0E12CDA6
	v_mfma_f32_16x16x16_bf16 v[132:135], a[168:169], v[104:105], v[132:135]// 000000005370: D3E10084 0E12D1A8
	v_mfma_f32_16x16x16_bf16 v[132:135], a[170:171], v[106:107], v[132:135]// 000000005378: D3E10084 0E12D5AA
	v_mfma_f32_16x16x16_bf16 v[132:135], a[172:173], v[108:109], v[132:135]// 000000005380: D3E10084 0E12D9AC
	v_mfma_f32_16x16x16_bf16 v[132:135], a[174:175], v[110:111], v[132:135]// 000000005388: D3E10084 0E12DDAE
	v_mfma_f32_16x16x16_bf16 v[132:135], a[176:177], v[112:113], v[132:135]// 000000005390: D3E10084 0E12E1B0
	v_mfma_f32_16x16x16_bf16 v[132:135], a[178:179], v[114:115], v[132:135]// 000000005398: D3E10084 0E12E5B2
	v_mfma_f32_16x16x16_bf16 v[132:135], a[180:181], v[116:117], v[132:135]// 0000000053A0: D3E10084 0E12E9B4
	v_mfma_f32_16x16x16_bf16 v[132:135], a[182:183], v[118:119], v[132:135]// 0000000053A8: D3E10084 0E12EDB6
	v_mfma_f32_16x16x16_bf16 v[132:135], a[184:185], v[120:121], v[132:135]// 0000000053B0: D3E10084 0E12F1B8
	v_mfma_f32_16x16x16_bf16 v[132:135], a[186:187], v[122:123], v[132:135]// 0000000053B8: D3E10084 0E12F5BA
	v_mfma_f32_16x16x16_bf16 v[132:135], a[188:189], v[124:125], v[132:135]// 0000000053C0: D3E10084 0E12F9BC
	v_mfma_f32_16x16x16_bf16 v[132:135], a[190:191], v[126:127], v[132:135]// 0000000053C8: D3E10084 0E12FDBE
	s_nop 8                                                    // 0000000053D0: BF800008
	s_branch label_0E9F                                        // 0000000053D4: BF820229

00000000000053d8 <label_0C76>:
	s_waitcnt vmcnt(16) lgkmcnt(0)                             // 0000000053D8: BF8C4070
	s_barrier                                                  // 0000000053DC: BF8A0000
	v_mfma_f32_16x16x16_bf16 v[96:99], a[64:65], v[80:81], 0   // 0000000053E0: D3E10060 0A02A140
	v_mfma_f32_16x16x16_bf16 v[96:99], a[66:67], v[82:83], v[96:99]// 0000000053E8: D3E10060 0D82A542
	v_mfma_f32_16x16x16_bf16 v[96:99], a[68:69], v[84:85], v[96:99]// 0000000053F0: D3E10060 0D82A944
	v_mfma_f32_16x16x16_bf16 v[96:99], a[70:71], v[86:87], v[96:99]// 0000000053F8: D3E10060 0D82AD46
	v_mfma_f32_16x16x16_bf16 v[96:99], a[72:73], v[88:89], v[96:99]// 000000005400: D3E10060 0D82B148
	v_mfma_f32_16x16x16_bf16 v[96:99], a[74:75], v[90:91], v[96:99]// 000000005408: D3E10060 0D82B54A
	v_mfma_f32_16x16x16_bf16 v[96:99], a[76:77], v[92:93], v[96:99]// 000000005410: D3E10060 0D82B94C
	v_mfma_f32_16x16x16_bf16 v[96:99], a[78:79], v[94:95], v[96:99]// 000000005418: D3E10060 0D82BD4E
	v_mfma_f32_16x16x16_bf16 v[100:103], a[80:81], v[80:81], 0 // 000000005420: D3E10064 0A02A150
	v_mfma_f32_16x16x16_bf16 v[100:103], a[82:83], v[82:83], v[100:103]// 000000005428: D3E10064 0D92A552
	v_mfma_f32_16x16x16_bf16 v[100:103], a[84:85], v[84:85], v[100:103]// 000000005430: D3E10064 0D92A954
	v_mfma_f32_16x16x16_bf16 v[100:103], a[86:87], v[86:87], v[100:103]// 000000005438: D3E10064 0D92AD56
	v_mfma_f32_16x16x16_bf16 v[100:103], a[88:89], v[88:89], v[100:103]// 000000005440: D3E10064 0D92B158
	v_mfma_f32_16x16x16_bf16 v[100:103], a[90:91], v[90:91], v[100:103]// 000000005448: D3E10064 0D92B55A
	v_mfma_f32_16x16x16_bf16 v[100:103], a[92:93], v[92:93], v[100:103]// 000000005450: D3E10064 0D92B95C
	v_mfma_f32_16x16x16_bf16 v[100:103], a[94:95], v[94:95], v[100:103]// 000000005458: D3E10064 0D92BD5E
	v_mfma_f32_16x16x16_bf16 v[104:107], a[96:97], v[80:81], 0 // 000000005460: D3E10068 0A02A160
	v_mfma_f32_16x16x16_bf16 v[104:107], a[98:99], v[82:83], v[104:107]// 000000005468: D3E10068 0DA2A562
	v_mfma_f32_16x16x16_bf16 v[104:107], a[100:101], v[84:85], v[104:107]// 000000005470: D3E10068 0DA2A964
	v_mfma_f32_16x16x16_bf16 v[104:107], a[102:103], v[86:87], v[104:107]// 000000005478: D3E10068 0DA2AD66
	v_mfma_f32_16x16x16_bf16 v[104:107], a[104:105], v[88:89], v[104:107]// 000000005480: D3E10068 0DA2B168
	v_mfma_f32_16x16x16_bf16 v[104:107], a[106:107], v[90:91], v[104:107]// 000000005488: D3E10068 0DA2B56A
	v_mfma_f32_16x16x16_bf16 v[104:107], a[108:109], v[92:93], v[104:107]// 000000005490: D3E10068 0DA2B96C
	v_mfma_f32_16x16x16_bf16 v[104:107], a[110:111], v[94:95], v[104:107]// 000000005498: D3E10068 0DA2BD6E
	v_mfma_f32_16x16x16_bf16 v[108:111], a[112:113], v[80:81], 0// 0000000054A0: D3E1006C 0A02A170
	v_mfma_f32_16x16x16_bf16 v[108:111], a[114:115], v[82:83], v[108:111]// 0000000054A8: D3E1006C 0DB2A572
	v_mfma_f32_16x16x16_bf16 v[108:111], a[116:117], v[84:85], v[108:111]// 0000000054B0: D3E1006C 0DB2A974
	v_mfma_f32_16x16x16_bf16 v[108:111], a[118:119], v[86:87], v[108:111]// 0000000054B8: D3E1006C 0DB2AD76
	v_mfma_f32_16x16x16_bf16 v[108:111], a[120:121], v[88:89], v[108:111]// 0000000054C0: D3E1006C 0DB2B178
	v_mfma_f32_16x16x16_bf16 v[108:111], a[122:123], v[90:91], v[108:111]// 0000000054C8: D3E1006C 0DB2B57A
	v_mfma_f32_16x16x16_bf16 v[108:111], a[124:125], v[92:93], v[108:111]// 0000000054D0: D3E1006C 0DB2B97C
	v_mfma_f32_16x16x16_bf16 v[108:111], a[126:127], v[94:95], v[108:111]// 0000000054D8: D3E1006C 0DB2BD7E
	s_nop 8                                                    // 0000000054E0: BF800008
	s_and_b32 s60, s72, 0xff                                   // 0000000054E4: 863CFF48 000000FF
	v_mov_b32_e32 v53, s60                                     // 0000000054EC: 7E6A023C
	v_lshrrev_b32_e32 v30, 4, v0                               // 0000000054F0: 203C0084
	v_mul_i32_i24_e32 v30, 4, v30                              // 0000000054F4: 0C3C3C84
	s_mul_i32 s60, s7, 16                                      // 0000000054F8: 923C9007
	v_add_u32_e32 v30, s60, v30                                // 0000000054FC: 683C3C3C
	v_add_u32_e32 v31, 1, v30                                  // 000000005500: 683E3C81
	v_add_u32_e32 v32, 2, v30                                  // 000000005504: 68403C82
	v_add_u32_e32 v33, 3, v30                                  // 000000005508: 68423C83
	v_mov_b32_e32 v38, v52                                     // 00000000550C: 7E4C0334
	v_cmp_lt_u32_e64 s[40:41], v30, v53                        // 000000005510: D0C90028 00026B1E
	v_add_u32_e32 v30, 64, v30                                 // 000000005518: 683C3CC0
	s_nop 0                                                    // 00000000551C: BF800000
	v_cndmask_b32_e64 v96, v38, v96, s[40:41]                  // 000000005520: D1000060 00A2C126
	v_cmp_lt_u32_e64 s[40:41], v31, v53                        // 000000005528: D0C90028 00026B1F
	v_add_u32_e32 v31, 64, v31                                 // 000000005530: 683E3EC0
	s_nop 0                                                    // 000000005534: BF800000
	v_cndmask_b32_e64 v97, v38, v97, s[40:41]                  // 000000005538: D1000061 00A2C326
	v_cmp_lt_u32_e64 s[40:41], v32, v53                        // 000000005540: D0C90028 00026B20
	v_add_u32_e32 v32, 64, v32                                 // 000000005548: 684040C0
	s_nop 0                                                    // 00000000554C: BF800000
	v_cndmask_b32_e64 v98, v38, v98, s[40:41]                  // 000000005550: D1000062 00A2C526
	v_cmp_lt_u32_e64 s[40:41], v33, v53                        // 000000005558: D0C90028 00026B21
	v_add_u32_e32 v33, 64, v33                                 // 000000005560: 684242C0
	s_nop 0                                                    // 000000005564: BF800000
	v_cndmask_b32_e64 v99, v38, v99, s[40:41]                  // 000000005568: D1000063 00A2C726
	v_cmp_lt_u32_e64 s[40:41], v30, v53                        // 000000005570: D0C90028 00026B1E
	v_add_u32_e32 v30, 64, v30                                 // 000000005578: 683C3CC0
	s_nop 0                                                    // 00000000557C: BF800000
	v_cndmask_b32_e64 v100, v38, v100, s[40:41]                // 000000005580: D1000064 00A2C926
	v_cmp_lt_u32_e64 s[40:41], v31, v53                        // 000000005588: D0C90028 00026B1F
	v_add_u32_e32 v31, 64, v31                                 // 000000005590: 683E3EC0
	s_nop 0                                                    // 000000005594: BF800000
	v_cndmask_b32_e64 v101, v38, v101, s[40:41]                // 000000005598: D1000065 00A2CB26
	v_cmp_lt_u32_e64 s[40:41], v32, v53                        // 0000000055A0: D0C90028 00026B20
	v_add_u32_e32 v32, 64, v32                                 // 0000000055A8: 684040C0
	s_nop 0                                                    // 0000000055AC: BF800000
	v_cndmask_b32_e64 v102, v38, v102, s[40:41]                // 0000000055B0: D1000066 00A2CD26
	v_cmp_lt_u32_e64 s[40:41], v33, v53                        // 0000000055B8: D0C90028 00026B21
	v_add_u32_e32 v33, 64, v33                                 // 0000000055C0: 684242C0
	s_nop 0                                                    // 0000000055C4: BF800000
	v_cndmask_b32_e64 v103, v38, v103, s[40:41]                // 0000000055C8: D1000067 00A2CF26
	v_cmp_lt_u32_e64 s[40:41], v30, v53                        // 0000000055D0: D0C90028 00026B1E
	v_add_u32_e32 v30, 64, v30                                 // 0000000055D8: 683C3CC0
	s_nop 0                                                    // 0000000055DC: BF800000
	v_cndmask_b32_e64 v104, v38, v104, s[40:41]                // 0000000055E0: D1000068 00A2D126
	v_cmp_lt_u32_e64 s[40:41], v31, v53                        // 0000000055E8: D0C90028 00026B1F
	v_add_u32_e32 v31, 64, v31                                 // 0000000055F0: 683E3EC0
	s_nop 0                                                    // 0000000055F4: BF800000
	v_cndmask_b32_e64 v105, v38, v105, s[40:41]                // 0000000055F8: D1000069 00A2D326
	v_cmp_lt_u32_e64 s[40:41], v32, v53                        // 000000005600: D0C90028 00026B20
	v_add_u32_e32 v32, 64, v32                                 // 000000005608: 684040C0
	s_nop 0                                                    // 00000000560C: BF800000
	v_cndmask_b32_e64 v106, v38, v106, s[40:41]                // 000000005610: D100006A 00A2D526
	v_cmp_lt_u32_e64 s[40:41], v33, v53                        // 000000005618: D0C90028 00026B21
	v_add_u32_e32 v33, 64, v33                                 // 000000005620: 684242C0
	s_nop 0                                                    // 000000005624: BF800000
	v_cndmask_b32_e64 v107, v38, v107, s[40:41]                // 000000005628: D100006B 00A2D726
	v_cmp_lt_u32_e64 s[40:41], v30, v53                        // 000000005630: D0C90028 00026B1E
	v_add_u32_e32 v30, 64, v30                                 // 000000005638: 683C3CC0
	s_nop 0                                                    // 00000000563C: BF800000
	v_cndmask_b32_e64 v108, v38, v108, s[40:41]                // 000000005640: D100006C 00A2D926
	v_cmp_lt_u32_e64 s[40:41], v31, v53                        // 000000005648: D0C90028 00026B1F
	v_add_u32_e32 v31, 64, v31                                 // 000000005650: 683E3EC0
	s_nop 0                                                    // 000000005654: BF800000
	v_cndmask_b32_e64 v109, v38, v109, s[40:41]                // 000000005658: D100006D 00A2DB26
	v_cmp_lt_u32_e64 s[40:41], v32, v53                        // 000000005660: D0C90028 00026B20
	v_add_u32_e32 v32, 64, v32                                 // 000000005668: 684040C0
	s_nop 0                                                    // 00000000566C: BF800000
	v_cndmask_b32_e64 v110, v38, v110, s[40:41]                // 000000005670: D100006E 00A2DD26
	v_cmp_lt_u32_e64 s[40:41], v33, v53                        // 000000005678: D0C90028 00026B21
	v_add_u32_e32 v33, 64, v33                                 // 000000005680: 684242C0
	s_nop 0                                                    // 000000005684: BF800000
	v_cndmask_b32_e64 v111, v38, v111, s[40:41]                // 000000005688: D100006F 00A2DF26
	s_nop 8                                                    // 000000005690: BF800008
	v_mov_b32_e32 v48, v96                                     // 000000005694: 7E600360
	v_max3_f32 v48, v96, v97, v48                              // 000000005698: D1D30030 04C2C360
	v_max3_f32 v48, v98, v99, v48                              // 0000000056A0: D1D30030 04C2C762
	v_max3_f32 v48, v100, v101, v48                            // 0000000056A8: D1D30030 04C2CB64
	v_max3_f32 v48, v102, v103, v48                            // 0000000056B0: D1D30030 04C2CF66
	v_max3_f32 v48, v104, v105, v48                            // 0000000056B8: D1D30030 04C2D368
	v_max3_f32 v48, v106, v107, v48                            // 0000000056C0: D1D30030 04C2D76A
	v_max3_f32 v48, v108, v109, v48                            // 0000000056C8: D1D30030 04C2DB6C
	v_max3_f32 v48, v110, v111, v48                            // 0000000056D0: D1D30030 04C2DF6E
	ds_write_b32 v11, v48 offset:4224                          // 0000000056D8: D81A1080 0000300B
	s_waitcnt lgkmcnt(0)                                       // 0000000056E0: BF8CC07F
	s_barrier                                                  // 0000000056E4: BF8A0000
	ds_read_b32 v64, v10 offset:4224                           // 0000000056E8: D86C1080 4000000A
	ds_read_b32 v65, v10 offset:4288                           // 0000000056F0: D86C10C0 4100000A
	ds_read_b32 v66, v10 offset:4352                           // 0000000056F8: D86C1100 4200000A
	ds_read_b32 v67, v10 offset:4416                           // 000000005700: D86C1140 4300000A
	ds_read_b32 v68, v10 offset:4480                           // 000000005708: D86C1180 4400000A
	ds_read_b32 v69, v10 offset:4544                           // 000000005710: D86C11C0 4500000A
	ds_read_b32 v70, v10 offset:4608                           // 000000005718: D86C1200 4600000A
	ds_read_b32 v71, v10 offset:4672                           // 000000005720: D86C1240 4700000A
	ds_read_b32 v72, v10 offset:4736                           // 000000005728: D86C1280 4800000A
	ds_read_b32 v73, v10 offset:4800                           // 000000005730: D86C12C0 4900000A
	ds_read_b32 v74, v10 offset:4864                           // 000000005738: D86C1300 4A00000A
	ds_read_b32 v75, v10 offset:4928                           // 000000005740: D86C1340 4B00000A
	ds_read_b32 v76, v10 offset:4992                           // 000000005748: D86C1380 4C00000A
	ds_read_b32 v77, v10 offset:5056                           // 000000005750: D86C13C0 4D00000A
	ds_read_b32 v78, v10 offset:5120                           // 000000005758: D86C1400 4E00000A
	ds_read_b32 v79, v10 offset:5184                           // 000000005760: D86C1440 4F00000A
	s_waitcnt lgkmcnt(0)                                       // 000000005768: BF8CC07F
	v_max3_f32 v48, v64, v65, v48                              // 00000000576C: D1D30030 04C28340
	v_max3_f32 v48, v66, v67, v48                              // 000000005774: D1D30030 04C28742
	v_max3_f32 v48, v68, v69, v48                              // 00000000577C: D1D30030 04C28B44
	v_max3_f32 v48, v70, v71, v48                              // 000000005784: D1D30030 04C28F46
	v_max3_f32 v48, v72, v73, v48                              // 00000000578C: D1D30030 04C29348
	v_max3_f32 v48, v74, v75, v48                              // 000000005794: D1D30030 04C2974A
	v_max3_f32 v48, v76, v77, v48                              // 00000000579C: D1D30030 04C29B4C
	v_max3_f32 v48, v78, v79, v48                              // 0000000057A4: D1D30030 04C29F4E
	v_cmp_eq_u32_e64 s[40:41], v52, v14                        // 0000000057AC: D0CA0028 00021D34
	s_nop 1                                                    // 0000000057B4: BF800001
	v_max_f32_e32 v15, v48, v14                                // 0000000057B8: 161E1D30
	v_sub_f32_e32 v49, v14, v15                                // 0000000057BC: 04621F0E
	v_cndmask_b32_e64 v49, v49, 0, s[40:41]                    // 0000000057C0: D1000031 00A10131
	v_mov_b32_e32 v14, v15                                     // 0000000057C8: 7E1C030F
	v_mul_f32_e32 v50, s64, v15                                // 0000000057CC: 0A641E40
	v_mul_f32_e32 v49, s64, v49                                // 0000000057D0: 0A626240
	v_exp_f32_e32 v49, v49                                     // 0000000057D4: 7E624131
	v_fma_f32 v96, v96, s64, -v50                              // 0000000057D8: D1CB0060 84C88160
	v_fma_f32 v97, v97, s64, -v50                              // 0000000057E0: D1CB0061 84C88161
	v_fma_f32 v98, v98, s64, -v50                              // 0000000057E8: D1CB0062 84C88162
	v_fma_f32 v99, v99, s64, -v50                              // 0000000057F0: D1CB0063 84C88163
	v_fma_f32 v100, v100, s64, -v50                            // 0000000057F8: D1CB0064 84C88164
	v_fma_f32 v101, v101, s64, -v50                            // 000000005800: D1CB0065 84C88165
	v_fma_f32 v102, v102, s64, -v50                            // 000000005808: D1CB0066 84C88166
	v_fma_f32 v103, v103, s64, -v50                            // 000000005810: D1CB0067 84C88167
	v_fma_f32 v104, v104, s64, -v50                            // 000000005818: D1CB0068 84C88168
	v_fma_f32 v105, v105, s64, -v50                            // 000000005820: D1CB0069 84C88169
	v_fma_f32 v106, v106, s64, -v50                            // 000000005828: D1CB006A 84C8816A
	v_fma_f32 v107, v107, s64, -v50                            // 000000005830: D1CB006B 84C8816B
	v_fma_f32 v108, v108, s64, -v50                            // 000000005838: D1CB006C 84C8816C
	v_fma_f32 v109, v109, s64, -v50                            // 000000005840: D1CB006D 84C8816D
	v_fma_f32 v110, v110, s64, -v50                            // 000000005848: D1CB006E 84C8816E
	v_fma_f32 v111, v111, s64, -v50                            // 000000005850: D1CB006F 84C8816F
	v_exp_f32_e32 v96, v96                                     // 000000005858: 7EC04160
	v_exp_f32_e32 v97, v97                                     // 00000000585C: 7EC24161
	v_exp_f32_e32 v98, v98                                     // 000000005860: 7EC44162
	v_exp_f32_e32 v99, v99                                     // 000000005864: 7EC64163
	v_exp_f32_e32 v100, v100                                   // 000000005868: 7EC84164
	v_exp_f32_e32 v101, v101                                   // 00000000586C: 7ECA4165
	v_exp_f32_e32 v102, v102                                   // 000000005870: 7ECC4166
	v_exp_f32_e32 v103, v103                                   // 000000005874: 7ECE4167
	v_exp_f32_e32 v104, v104                                   // 000000005878: 7ED04168
	v_exp_f32_e32 v105, v105                                   // 00000000587C: 7ED24169
	v_exp_f32_e32 v106, v106                                   // 000000005880: 7ED4416A
	v_exp_f32_e32 v107, v107                                   // 000000005884: 7ED6416B
	v_exp_f32_e32 v108, v108                                   // 000000005888: 7ED8416C
	v_exp_f32_e32 v109, v109                                   // 00000000588C: 7EDA416D
	v_exp_f32_e32 v110, v110                                   // 000000005890: 7EDC416E
	v_exp_f32_e32 v111, v111                                   // 000000005894: 7EDE416F
	v_mul_f32_e32 v42, v49, v42                                // 000000005898: 0A545531
	v_mov_b32_e32 v43, v96                                     // 00000000589C: 7E560360
	v_add_f32_e32 v43, v97, v43                                // 0000000058A0: 02565761
	v_add_f32_e32 v43, v98, v43                                // 0000000058A4: 02565762
	v_add_f32_e32 v43, v99, v43                                // 0000000058A8: 02565763
	v_add_f32_e32 v43, v100, v43                               // 0000000058AC: 02565764
	v_add_f32_e32 v43, v101, v43                               // 0000000058B0: 02565765
	v_add_f32_e32 v43, v102, v43                               // 0000000058B4: 02565766
	v_add_f32_e32 v43, v103, v43                               // 0000000058B8: 02565767
	v_add_f32_e32 v43, v104, v43                               // 0000000058BC: 02565768
	v_add_f32_e32 v43, v105, v43                               // 0000000058C0: 02565769
	v_add_f32_e32 v43, v106, v43                               // 0000000058C4: 0256576A
	v_add_f32_e32 v43, v107, v43                               // 0000000058C8: 0256576B
	v_add_f32_e32 v43, v108, v43                               // 0000000058CC: 0256576C
	v_add_f32_e32 v43, v109, v43                               // 0000000058D0: 0256576D
	v_add_f32_e32 v43, v110, v43                               // 0000000058D4: 0256576E
	v_add_f32_e32 v43, v111, v43                               // 0000000058D8: 0256576F
	v_add_f32_e32 v42, v43, v42                                // 0000000058DC: 0254552B
	v_cmp_u_f32_e64 s[40:41], v96, v96                         // 0000000058E0: D0480028 0002C160
	v_add3_u32 v18, v96, v21, 1                                // 0000000058E8: D1FF0012 02062B60
	v_cndmask_b32_e64 v38, v18, v20, s[40:41]                  // 0000000058F0: D1000026 00A22912
	v_cmp_u_f32_e64 s[40:41], v97, v97                         // 0000000058F8: D0480028 0002C361
	v_add3_u32 v18, v97, v21, 1                                // 000000005900: D1FF0012 02062B61
	v_cndmask_b32_e64 v39, v18, v20, s[40:41]                  // 000000005908: D1000027 00A22912
	v_perm_b32 v96, v39, v38, s52                              // 000000005910: D1ED0060 00D24D27
	v_cmp_u_f32_e64 s[40:41], v98, v98                         // 000000005918: D0480028 0002C562
	v_add3_u32 v18, v98, v21, 1                                // 000000005920: D1FF0012 02062B62
	v_cndmask_b32_e64 v38, v18, v20, s[40:41]                  // 000000005928: D1000026 00A22912
	v_cmp_u_f32_e64 s[40:41], v99, v99                         // 000000005930: D0480028 0002C763
	v_add3_u32 v18, v99, v21, 1                                // 000000005938: D1FF0012 02062B63
	v_cndmask_b32_e64 v39, v18, v20, s[40:41]                  // 000000005940: D1000027 00A22912
	v_perm_b32 v97, v39, v38, s52                              // 000000005948: D1ED0061 00D24D27
	v_cmp_u_f32_e64 s[40:41], v100, v100                       // 000000005950: D0480028 0002C964
	v_add3_u32 v18, v100, v21, 1                               // 000000005958: D1FF0012 02062B64
	v_cndmask_b32_e64 v38, v18, v20, s[40:41]                  // 000000005960: D1000026 00A22912
	v_cmp_u_f32_e64 s[40:41], v101, v101                       // 000000005968: D0480028 0002CB65
	v_add3_u32 v18, v101, v21, 1                               // 000000005970: D1FF0012 02062B65
	v_cndmask_b32_e64 v39, v18, v20, s[40:41]                  // 000000005978: D1000027 00A22912
	v_perm_b32 v98, v39, v38, s52                              // 000000005980: D1ED0062 00D24D27
	v_cmp_u_f32_e64 s[40:41], v102, v102                       // 000000005988: D0480028 0002CD66
	v_add3_u32 v18, v102, v21, 1                               // 000000005990: D1FF0012 02062B66
	v_cndmask_b32_e64 v38, v18, v20, s[40:41]                  // 000000005998: D1000026 00A22912
	v_cmp_u_f32_e64 s[40:41], v103, v103                       // 0000000059A0: D0480028 0002CF67
	v_add3_u32 v18, v103, v21, 1                               // 0000000059A8: D1FF0012 02062B67
	v_cndmask_b32_e64 v39, v18, v20, s[40:41]                  // 0000000059B0: D1000027 00A22912
	v_perm_b32 v99, v39, v38, s52                              // 0000000059B8: D1ED0063 00D24D27
	v_cmp_u_f32_e64 s[40:41], v104, v104                       // 0000000059C0: D0480028 0002D168
	v_add3_u32 v18, v104, v21, 1                               // 0000000059C8: D1FF0012 02062B68
	v_cndmask_b32_e64 v38, v18, v20, s[40:41]                  // 0000000059D0: D1000026 00A22912
	v_cmp_u_f32_e64 s[40:41], v105, v105                       // 0000000059D8: D0480028 0002D369
	v_add3_u32 v18, v105, v21, 1                               // 0000000059E0: D1FF0012 02062B69
	v_cndmask_b32_e64 v39, v18, v20, s[40:41]                  // 0000000059E8: D1000027 00A22912
	v_perm_b32 v100, v39, v38, s52                             // 0000000059F0: D1ED0064 00D24D27
	v_cmp_u_f32_e64 s[40:41], v106, v106                       // 0000000059F8: D0480028 0002D56A
	v_add3_u32 v18, v106, v21, 1                               // 000000005A00: D1FF0012 02062B6A
	v_cndmask_b32_e64 v38, v18, v20, s[40:41]                  // 000000005A08: D1000026 00A22912
	v_cmp_u_f32_e64 s[40:41], v107, v107                       // 000000005A10: D0480028 0002D76B
	v_add3_u32 v18, v107, v21, 1                               // 000000005A18: D1FF0012 02062B6B
	v_cndmask_b32_e64 v39, v18, v20, s[40:41]                  // 000000005A20: D1000027 00A22912
	v_perm_b32 v101, v39, v38, s52                             // 000000005A28: D1ED0065 00D24D27
	v_cmp_u_f32_e64 s[40:41], v108, v108                       // 000000005A30: D0480028 0002D96C
	v_add3_u32 v18, v108, v21, 1                               // 000000005A38: D1FF0012 02062B6C
	v_cndmask_b32_e64 v38, v18, v20, s[40:41]                  // 000000005A40: D1000026 00A22912
	v_cmp_u_f32_e64 s[40:41], v109, v109                       // 000000005A48: D0480028 0002DB6D
	v_add3_u32 v18, v109, v21, 1                               // 000000005A50: D1FF0012 02062B6D
	v_cndmask_b32_e64 v39, v18, v20, s[40:41]                  // 000000005A58: D1000027 00A22912
	v_perm_b32 v102, v39, v38, s52                             // 000000005A60: D1ED0066 00D24D27
	v_cmp_u_f32_e64 s[40:41], v110, v110                       // 000000005A68: D0480028 0002DD6E
	v_add3_u32 v18, v110, v21, 1                               // 000000005A70: D1FF0012 02062B6E
	v_cndmask_b32_e64 v38, v18, v20, s[40:41]                  // 000000005A78: D1000026 00A22912
	v_cmp_u_f32_e64 s[40:41], v111, v111                       // 000000005A80: D0480028 0002DF6F
	v_add3_u32 v18, v111, v21, 1                               // 000000005A88: D1FF0012 02062B6F
	v_cndmask_b32_e64 v39, v18, v20, s[40:41]                  // 000000005A90: D1000027 00A22912
	v_perm_b32 v103, v39, v38, s52                             // 000000005A98: D1ED0067 00D24D27
	ds_write_b64 v13, v[96:97] offset:5248                     // 000000005AA0: D89A1480 0000600D
	ds_write_b64 v13, v[98:99] offset:7296                     // 000000005AA8: D89A1C80 0000620D
	ds_write_b64 v13, v[100:101] offset:9344                   // 000000005AB0: D89A2480 0000640D
	ds_write_b64 v13, v[102:103] offset:11392                  // 000000005AB8: D89A2C80 0000660D
	s_waitcnt lgkmcnt(0)                                       // 000000005AC0: BF8CC07F
	s_barrier                                                  // 000000005AC4: BF8A0000
	ds_read_b64 v[96:97], v12 offset:5248                      // 000000005AC8: D8EC1480 6000000C
	ds_read_b64 v[98:99], v12 offset:5376                      // 000000005AD0: D8EC1500 6200000C
	ds_read_b64 v[100:101], v12 offset:6272                    // 000000005AD8: D8EC1880 6400000C
	ds_read_b64 v[102:103], v12 offset:6400                    // 000000005AE0: D8EC1900 6600000C
	ds_read_b64 v[104:105], v12 offset:7296                    // 000000005AE8: D8EC1C80 6800000C
	ds_read_b64 v[106:107], v12 offset:7424                    // 000000005AF0: D8EC1D00 6A00000C
	ds_read_b64 v[108:109], v12 offset:8320                    // 000000005AF8: D8EC2080 6C00000C
	ds_read_b64 v[110:111], v12 offset:8448                    // 000000005B00: D8EC2100 6E00000C
	ds_read_b64 v[112:113], v12 offset:9344                    // 000000005B08: D8EC2480 7000000C
	ds_read_b64 v[114:115], v12 offset:9472                    // 000000005B10: D8EC2500 7200000C
	ds_read_b64 v[116:117], v12 offset:10368                   // 000000005B18: D8EC2880 7400000C
	ds_read_b64 v[118:119], v12 offset:10496                   // 000000005B20: D8EC2900 7600000C
	ds_read_b64 v[120:121], v12 offset:11392                   // 000000005B28: D8EC2C80 7800000C
	ds_read_b64 v[122:123], v12 offset:11520                   // 000000005B30: D8EC2D00 7A00000C
	ds_read_b64 v[124:125], v12 offset:12416                   // 000000005B38: D8EC3080 7C00000C
	ds_read_b64 v[126:127], v12 offset:12544                   // 000000005B40: D8EC3100 7E00000C
	s_waitcnt lgkmcnt(0)                                       // 000000005B48: BF8CC07F
	v_mul_f32_e32 v128, v49, v128                              // 000000005B4C: 0B010131
	v_mul_f32_e32 v129, v49, v129                              // 000000005B50: 0B030331
	v_mul_f32_e32 v130, v49, v130                              // 000000005B54: 0B050531
	v_mul_f32_e32 v131, v49, v131                              // 000000005B58: 0B070731
	v_mul_f32_e32 v132, v49, v132                              // 000000005B5C: 0B090931
	v_mul_f32_e32 v133, v49, v133                              // 000000005B60: 0B0B0B31
	v_mul_f32_e32 v134, v49, v134                              // 000000005B64: 0B0D0D31
	v_mul_f32_e32 v135, v49, v135                              // 000000005B68: 0B0F0F31
	s_waitcnt vmcnt(0)                                         // 000000005B6C: BF8C0F70
	s_barrier                                                  // 000000005B70: BF8A0000
	v_mfma_f32_16x16x16_bf16 v[128:131], a[192:193], v[96:97], v[128:131]// 000000005B74: D3E10080 0E02C1C0
	v_mfma_f32_16x16x16_bf16 v[128:131], a[194:195], v[98:99], v[128:131]// 000000005B7C: D3E10080 0E02C5C2
	v_mfma_f32_16x16x16_bf16 v[128:131], a[196:197], v[100:101], v[128:131]// 000000005B84: D3E10080 0E02C9C4
	v_mfma_f32_16x16x16_bf16 v[128:131], a[198:199], v[102:103], v[128:131]// 000000005B8C: D3E10080 0E02CDC6
	v_mfma_f32_16x16x16_bf16 v[128:131], a[200:201], v[104:105], v[128:131]// 000000005B94: D3E10080 0E02D1C8
	v_mfma_f32_16x16x16_bf16 v[128:131], a[202:203], v[106:107], v[128:131]// 000000005B9C: D3E10080 0E02D5CA
	v_mfma_f32_16x16x16_bf16 v[128:131], a[204:205], v[108:109], v[128:131]// 000000005BA4: D3E10080 0E02D9CC
	v_mfma_f32_16x16x16_bf16 v[128:131], a[206:207], v[110:111], v[128:131]// 000000005BAC: D3E10080 0E02DDCE
	v_mfma_f32_16x16x16_bf16 v[128:131], a[208:209], v[112:113], v[128:131]// 000000005BB4: D3E10080 0E02E1D0
	v_mfma_f32_16x16x16_bf16 v[128:131], a[210:211], v[114:115], v[128:131]// 000000005BBC: D3E10080 0E02E5D2
	v_mfma_f32_16x16x16_bf16 v[128:131], a[212:213], v[116:117], v[128:131]// 000000005BC4: D3E10080 0E02E9D4
	v_mfma_f32_16x16x16_bf16 v[128:131], a[214:215], v[118:119], v[128:131]// 000000005BCC: D3E10080 0E02EDD6
	v_mfma_f32_16x16x16_bf16 v[128:131], a[216:217], v[120:121], v[128:131]// 000000005BD4: D3E10080 0E02F1D8
	v_mfma_f32_16x16x16_bf16 v[128:131], a[218:219], v[122:123], v[128:131]// 000000005BDC: D3E10080 0E02F5DA
	v_mfma_f32_16x16x16_bf16 v[128:131], a[220:221], v[124:125], v[128:131]// 000000005BE4: D3E10080 0E02F9DC
	v_mfma_f32_16x16x16_bf16 v[128:131], a[222:223], v[126:127], v[128:131]// 000000005BEC: D3E10080 0E02FDDE
	v_mfma_f32_16x16x16_bf16 v[132:135], a[224:225], v[96:97], v[132:135]// 000000005BF4: D3E10084 0E12C1E0
	v_mfma_f32_16x16x16_bf16 v[132:135], a[226:227], v[98:99], v[132:135]// 000000005BFC: D3E10084 0E12C5E2
	v_mfma_f32_16x16x16_bf16 v[132:135], a[228:229], v[100:101], v[132:135]// 000000005C04: D3E10084 0E12C9E4
	v_mfma_f32_16x16x16_bf16 v[132:135], a[230:231], v[102:103], v[132:135]// 000000005C0C: D3E10084 0E12CDE6
	v_mfma_f32_16x16x16_bf16 v[132:135], a[232:233], v[104:105], v[132:135]// 000000005C14: D3E10084 0E12D1E8
	v_mfma_f32_16x16x16_bf16 v[132:135], a[234:235], v[106:107], v[132:135]// 000000005C1C: D3E10084 0E12D5EA
	v_mfma_f32_16x16x16_bf16 v[132:135], a[236:237], v[108:109], v[132:135]// 000000005C24: D3E10084 0E12D9EC
	v_mfma_f32_16x16x16_bf16 v[132:135], a[238:239], v[110:111], v[132:135]// 000000005C2C: D3E10084 0E12DDEE
	v_mfma_f32_16x16x16_bf16 v[132:135], a[240:241], v[112:113], v[132:135]// 000000005C34: D3E10084 0E12E1F0
	v_mfma_f32_16x16x16_bf16 v[132:135], a[242:243], v[114:115], v[132:135]// 000000005C3C: D3E10084 0E12E5F2
	v_mfma_f32_16x16x16_bf16 v[132:135], a[244:245], v[116:117], v[132:135]// 000000005C44: D3E10084 0E12E9F4
	v_mfma_f32_16x16x16_bf16 v[132:135], a[246:247], v[118:119], v[132:135]// 000000005C4C: D3E10084 0E12EDF6
	v_mfma_f32_16x16x16_bf16 v[132:135], a[248:249], v[120:121], v[132:135]// 000000005C54: D3E10084 0E12F1F8
	v_mfma_f32_16x16x16_bf16 v[132:135], a[250:251], v[122:123], v[132:135]// 000000005C5C: D3E10084 0E12F5FA
	v_mfma_f32_16x16x16_bf16 v[132:135], a[252:253], v[124:125], v[132:135]// 000000005C64: D3E10084 0E12F9FC
	v_mfma_f32_16x16x16_bf16 v[132:135], a[254:255], v[126:127], v[132:135]// 000000005C6C: D3E10084 0E12FDFE
	s_nop 8                                                    // 000000005C74: BF800008
	s_branch label_0E9F                                        // 000000005C78: BF820000

0000000000005c7c <label_0E9F>:
	ds_write_b32 v11, v42 offset:4224                          // 000000005C7C: D81A1080 00002A0B
	s_waitcnt lgkmcnt(0)                                       // 000000005C84: BF8CC07F
	s_barrier                                                  // 000000005C88: BF8A0000
	ds_read_b32 v64, v10 offset:4224                           // 000000005C8C: D86C1080 4000000A
	ds_read_b32 v65, v10 offset:4288                           // 000000005C94: D86C10C0 4100000A
	ds_read_b32 v66, v10 offset:4352                           // 000000005C9C: D86C1100 4200000A
	ds_read_b32 v67, v10 offset:4416                           // 000000005CA4: D86C1140 4300000A
	ds_read_b32 v68, v10 offset:4480                           // 000000005CAC: D86C1180 4400000A
	ds_read_b32 v69, v10 offset:4544                           // 000000005CB4: D86C11C0 4500000A
	ds_read_b32 v70, v10 offset:4608                           // 000000005CBC: D86C1200 4600000A
	ds_read_b32 v71, v10 offset:4672                           // 000000005CC4: D86C1240 4700000A
	ds_read_b32 v72, v10 offset:4736                           // 000000005CCC: D86C1280 4800000A
	ds_read_b32 v73, v10 offset:4800                           // 000000005CD4: D86C12C0 4900000A
	ds_read_b32 v74, v10 offset:4864                           // 000000005CDC: D86C1300 4A00000A
	ds_read_b32 v75, v10 offset:4928                           // 000000005CE4: D86C1340 4B00000A
	ds_read_b32 v76, v10 offset:4992                           // 000000005CEC: D86C1380 4C00000A
	ds_read_b32 v77, v10 offset:5056                           // 000000005CF4: D86C13C0 4D00000A
	ds_read_b32 v78, v10 offset:5120                           // 000000005CFC: D86C1400 4E00000A
	ds_read_b32 v79, v10 offset:5184                           // 000000005D04: D86C1440 4F00000A
	s_waitcnt lgkmcnt(0)                                       // 000000005D0C: BF8CC07F
	v_mov_b32_e32 v42, 0                                       // 000000005D10: 7E540280
	v_add_f32_e32 v42, v64, v42                                // 000000005D14: 02545540
	v_add_f32_e32 v42, v65, v42                                // 000000005D18: 02545541
	v_add_f32_e32 v42, v66, v42                                // 000000005D1C: 02545542
	v_add_f32_e32 v42, v67, v42                                // 000000005D20: 02545543
	v_add_f32_e32 v42, v68, v42                                // 000000005D24: 02545544
	v_add_f32_e32 v42, v69, v42                                // 000000005D28: 02545545
	v_add_f32_e32 v42, v70, v42                                // 000000005D2C: 02545546
	v_add_f32_e32 v42, v71, v42                                // 000000005D30: 02545547
	v_add_f32_e32 v42, v72, v42                                // 000000005D34: 02545548
	v_add_f32_e32 v42, v73, v42                                // 000000005D38: 02545549
	v_add_f32_e32 v42, v74, v42                                // 000000005D3C: 0254554A
	v_add_f32_e32 v42, v75, v42                                // 000000005D40: 0254554B
	v_add_f32_e32 v42, v76, v42                                // 000000005D44: 0254554C
	v_add_f32_e32 v42, v77, v42                                // 000000005D48: 0254554D
	v_add_f32_e32 v42, v78, v42                                // 000000005D4C: 0254554E
	v_add_f32_e32 v42, v79, v42                                // 000000005D50: 0254554F
	s_nop 1                                                    // 000000005D54: BF800001
	v_rcp_f32_e32 v42, v42                                     // 000000005D58: 7E54452A
	s_nop 1                                                    // 000000005D5C: BF800001
	v_mul_f32_e32 v128, v42, v128                              // 000000005D60: 0B01012A
	v_mul_f32_e32 v129, v42, v129                              // 000000005D64: 0B03032A
	v_mul_f32_e32 v130, v42, v130                              // 000000005D68: 0B05052A
	v_mul_f32_e32 v131, v42, v131                              // 000000005D6C: 0B07072A
	v_mul_f32_e32 v132, v42, v132                              // 000000005D70: 0B09092A
	v_mul_f32_e32 v133, v42, v133                              // 000000005D74: 0B0B0B2A
	v_mul_f32_e32 v134, v42, v134                              // 000000005D78: 0B0D0D2A
	v_mul_f32_e32 v135, v42, v135                              // 000000005D7C: 0B0F0F2A
	v_cmp_u_f32_e64 s[40:41], v128, v128                       // 000000005D80: D0480028 00030180
	v_add3_u32 v18, v128, v21, 1                               // 000000005D88: D1FF0012 02062B80
	v_cndmask_b32_e64 v38, v18, v20, s[40:41]                  // 000000005D90: D1000026 00A22912
	v_cmp_u_f32_e64 s[40:41], v129, v129                       // 000000005D98: D0480028 00030381
	v_add3_u32 v18, v129, v21, 1                               // 000000005DA0: D1FF0012 02062B81
	v_cndmask_b32_e64 v39, v18, v20, s[40:41]                  // 000000005DA8: D1000027 00A22912
	v_perm_b32 v128, v39, v38, s52                             // 000000005DB0: D1ED0080 00D24D27
	v_cmp_u_f32_e64 s[40:41], v130, v130                       // 000000005DB8: D0480028 00030582
	v_add3_u32 v18, v130, v21, 1                               // 000000005DC0: D1FF0012 02062B82
	v_cndmask_b32_e64 v38, v18, v20, s[40:41]                  // 000000005DC8: D1000026 00A22912
	v_cmp_u_f32_e64 s[40:41], v131, v131                       // 000000005DD0: D0480028 00030783
	v_add3_u32 v18, v131, v21, 1                               // 000000005DD8: D1FF0012 02062B83
	v_cndmask_b32_e64 v39, v18, v20, s[40:41]                  // 000000005DE0: D1000027 00A22912
	v_perm_b32 v129, v39, v38, s52                             // 000000005DE8: D1ED0081 00D24D27
	v_cmp_u_f32_e64 s[40:41], v132, v132                       // 000000005DF0: D0480028 00030984
	v_add3_u32 v18, v132, v21, 1                               // 000000005DF8: D1FF0012 02062B84
	v_cndmask_b32_e64 v38, v18, v20, s[40:41]                  // 000000005E00: D1000026 00A22912
	v_cmp_u_f32_e64 s[40:41], v133, v133                       // 000000005E08: D0480028 00030B85
	v_add3_u32 v18, v133, v21, 1                               // 000000005E10: D1FF0012 02062B85
	v_cndmask_b32_e64 v39, v18, v20, s[40:41]                  // 000000005E18: D1000027 00A22912
	v_perm_b32 v130, v39, v38, s52                             // 000000005E20: D1ED0082 00D24D27
	v_cmp_u_f32_e64 s[40:41], v134, v134                       // 000000005E28: D0480028 00030D86
	v_add3_u32 v18, v134, v21, 1                               // 000000005E30: D1FF0012 02062B86
	v_cndmask_b32_e64 v38, v18, v20, s[40:41]                  // 000000005E38: D1000026 00A22912
	v_cmp_u_f32_e64 s[40:41], v135, v135                       // 000000005E40: D0480028 00030F87
	v_add3_u32 v18, v135, v21, 1                               // 000000005E48: D1FF0012 02062B87
	v_cndmask_b32_e64 v39, v18, v20, s[40:41]                  // 000000005E50: D1000027 00A22912
	v_perm_b32 v131, v39, v38, s52                             // 000000005E58: D1ED0083 00D24D27
	v_lshrrev_b32_e32 v38, 4, v0                               // 000000005E60: 204C0084
	v_mul_i32_i24_e32 v5, 34, v38                              // 000000005E64: 0C0A4CA2
	v_and_b32_e32 v38, 15, v0                                  // 000000005E68: 264C008F
	v_mul_i32_i24_e32 v39, 2, v38                              // 000000005E6C: 0C4E4C82
	v_add_u32_e32 v5, v39, v5                                  // 000000005E70: 680A0B27
	s_mul_i32 s60, s7, 0x88                                    // 000000005E74: 923CFF07 00000088
	v_add_u32_e32 v5, s60, v5                                  // 000000005E7C: 680A0A3C
	v_lshlrev_b32_e32 v5, 2, v5                                // 000000005E80: 240A0A82
	ds_write_b64 v5, v[128:129] offset:21632                   // 000000005E84: D89A5480 00008005
	ds_write_b64 v5, v[130:131] offset:23808                   // 000000005E8C: D89A5D00 00008205
	v_lshrrev_b32_e32 v38, 1, v0                               // 000000005E94: 204C0081
	v_mul_i32_i24_e32 v5, 34, v38                              // 000000005E98: 0C0A4CA2
	v_and_b32_e32 v39, 1, v0                                   // 000000005E9C: 264E0081
	v_add_u32_e32 v5, v39, v5                                  // 000000005EA0: 680A0B27
	s_mul_i32 s60, s7, 2                                       // 000000005EA4: 923C8207
	v_add_u32_e32 v5, s60, v5                                  // 000000005EA8: 680A0A3C
	v_lshlrev_b32_e32 v5, 2, v5                                // 000000005EAC: 240A0A82
	s_waitcnt lgkmcnt(0)                                       // 000000005EB0: BF8CC07F
	s_barrier                                                  // 000000005EB4: BF8A0000
	ds_read_b32 v128, v5 offset:21632                          // 000000005EB8: D86C5480 80000005
	ds_read_b32 v129, v5 offset:21664                          // 000000005EC0: D86C54A0 81000005
	ds_read_b32 v130, v5 offset:21696                          // 000000005EC8: D86C54C0 82000005
	ds_read_b32 v131, v5 offset:21728                          // 000000005ED0: D86C54E0 83000005
	s_waitcnt lgkmcnt(0)                                       // 000000005ED8: BF8CC07F
	buffer_store_dword v128, v8, s[8:11], 0 offen              // 000000005EDC: E0701000 80028008
	buffer_store_dword v129, v8, s[8:11], 0 offen offset:1024  // 000000005EE4: E0701400 80028108
	buffer_store_dword v130, v8, s[8:11], 0 offen offset:2048  // 000000005EEC: E0701800 80028208
	buffer_store_dword v131, v8, s[8:11], 0 offen offset:3072  // 000000005EF4: E0701C00 80028308
	s_waitcnt vmcnt(0) expcnt(0) lgkmcnt(0)                    // 000000005EFC: BF8C0000
	s_endpgm                                                   // 000000005F00: BF810000
